;; amdgpu-corpus repo=ROCm/rocSPARSE kind=compiled arch=gfx950 opt=O3
	.amdgcn_target "amdgcn-amd-amdhsa--gfx950"
	.amdhsa_code_object_version 6
	.section	.text._ZN9rocsparseL19check_row_ptr_arrayILj256EiiEEvT1_PKT0_P22rocsparse_data_status_,"axG",@progbits,_ZN9rocsparseL19check_row_ptr_arrayILj256EiiEEvT1_PKT0_P22rocsparse_data_status_,comdat
	.globl	_ZN9rocsparseL19check_row_ptr_arrayILj256EiiEEvT1_PKT0_P22rocsparse_data_status_ ; -- Begin function _ZN9rocsparseL19check_row_ptr_arrayILj256EiiEEvT1_PKT0_P22rocsparse_data_status_
	.p2align	8
	.type	_ZN9rocsparseL19check_row_ptr_arrayILj256EiiEEvT1_PKT0_P22rocsparse_data_status_,@function
_ZN9rocsparseL19check_row_ptr_arrayILj256EiiEEvT1_PKT0_P22rocsparse_data_status_: ; @_ZN9rocsparseL19check_row_ptr_arrayILj256EiiEEvT1_PKT0_P22rocsparse_data_status_
; %bb.0:
	s_load_dword s3, s[0:1], 0x0
	v_lshl_or_b32 v0, s2, 8, v0
	s_waitcnt lgkmcnt(0)
	v_cmp_gt_i32_e32 vcc, s3, v0
	s_and_saveexec_b64 s[2:3], vcc
	s_cbranch_execz .LBB0_3
; %bb.1:
	s_load_dwordx2 s[2:3], s[0:1], 0x8
	v_ashrrev_i32_e32 v1, 31, v0
	s_waitcnt lgkmcnt(0)
	v_lshl_add_u64 v[0:1], v[0:1], 2, s[2:3]
	global_load_dwordx2 v[0:1], v[0:1], off
	s_load_dword s2, s[2:3], 0x0
	s_waitcnt vmcnt(0) lgkmcnt(0)
	v_cmp_gt_i32_e32 vcc, s2, v0
	v_max_i32_e32 v0, s2, v0
	v_cmp_gt_i32_e64 s[2:3], v0, v1
	s_or_b64 s[2:3], vcc, s[2:3]
	s_and_b64 exec, exec, s[2:3]
	s_cbranch_execz .LBB0_3
; %bb.2:
	s_load_dwordx2 s[0:1], s[0:1], 0x10
	v_mov_b32_e32 v0, 0
	v_mov_b32_e32 v1, 3
	s_waitcnt lgkmcnt(0)
	global_store_dword v0, v1, s[0:1]
.LBB0_3:
	s_endpgm
	.section	.rodata,"a",@progbits
	.p2align	6, 0x0
	.amdhsa_kernel _ZN9rocsparseL19check_row_ptr_arrayILj256EiiEEvT1_PKT0_P22rocsparse_data_status_
		.amdhsa_group_segment_fixed_size 0
		.amdhsa_private_segment_fixed_size 0
		.amdhsa_kernarg_size 24
		.amdhsa_user_sgpr_count 2
		.amdhsa_user_sgpr_dispatch_ptr 0
		.amdhsa_user_sgpr_queue_ptr 0
		.amdhsa_user_sgpr_kernarg_segment_ptr 1
		.amdhsa_user_sgpr_dispatch_id 0
		.amdhsa_user_sgpr_kernarg_preload_length 0
		.amdhsa_user_sgpr_kernarg_preload_offset 0
		.amdhsa_user_sgpr_private_segment_size 0
		.amdhsa_uses_dynamic_stack 0
		.amdhsa_enable_private_segment 0
		.amdhsa_system_sgpr_workgroup_id_x 1
		.amdhsa_system_sgpr_workgroup_id_y 0
		.amdhsa_system_sgpr_workgroup_id_z 0
		.amdhsa_system_sgpr_workgroup_info 0
		.amdhsa_system_vgpr_workitem_id 0
		.amdhsa_next_free_vgpr 2
		.amdhsa_next_free_sgpr 4
		.amdhsa_accum_offset 4
		.amdhsa_reserve_vcc 1
		.amdhsa_float_round_mode_32 0
		.amdhsa_float_round_mode_16_64 0
		.amdhsa_float_denorm_mode_32 3
		.amdhsa_float_denorm_mode_16_64 3
		.amdhsa_dx10_clamp 1
		.amdhsa_ieee_mode 1
		.amdhsa_fp16_overflow 0
		.amdhsa_tg_split 0
		.amdhsa_exception_fp_ieee_invalid_op 0
		.amdhsa_exception_fp_denorm_src 0
		.amdhsa_exception_fp_ieee_div_zero 0
		.amdhsa_exception_fp_ieee_overflow 0
		.amdhsa_exception_fp_ieee_underflow 0
		.amdhsa_exception_fp_ieee_inexact 0
		.amdhsa_exception_int_div_zero 0
	.end_amdhsa_kernel
	.section	.text._ZN9rocsparseL19check_row_ptr_arrayILj256EiiEEvT1_PKT0_P22rocsparse_data_status_,"axG",@progbits,_ZN9rocsparseL19check_row_ptr_arrayILj256EiiEEvT1_PKT0_P22rocsparse_data_status_,comdat
.Lfunc_end0:
	.size	_ZN9rocsparseL19check_row_ptr_arrayILj256EiiEEvT1_PKT0_P22rocsparse_data_status_, .Lfunc_end0-_ZN9rocsparseL19check_row_ptr_arrayILj256EiiEEvT1_PKT0_P22rocsparse_data_status_
                                        ; -- End function
	.set _ZN9rocsparseL19check_row_ptr_arrayILj256EiiEEvT1_PKT0_P22rocsparse_data_status_.num_vgpr, 2
	.set _ZN9rocsparseL19check_row_ptr_arrayILj256EiiEEvT1_PKT0_P22rocsparse_data_status_.num_agpr, 0
	.set _ZN9rocsparseL19check_row_ptr_arrayILj256EiiEEvT1_PKT0_P22rocsparse_data_status_.numbered_sgpr, 4
	.set _ZN9rocsparseL19check_row_ptr_arrayILj256EiiEEvT1_PKT0_P22rocsparse_data_status_.num_named_barrier, 0
	.set _ZN9rocsparseL19check_row_ptr_arrayILj256EiiEEvT1_PKT0_P22rocsparse_data_status_.private_seg_size, 0
	.set _ZN9rocsparseL19check_row_ptr_arrayILj256EiiEEvT1_PKT0_P22rocsparse_data_status_.uses_vcc, 1
	.set _ZN9rocsparseL19check_row_ptr_arrayILj256EiiEEvT1_PKT0_P22rocsparse_data_status_.uses_flat_scratch, 0
	.set _ZN9rocsparseL19check_row_ptr_arrayILj256EiiEEvT1_PKT0_P22rocsparse_data_status_.has_dyn_sized_stack, 0
	.set _ZN9rocsparseL19check_row_ptr_arrayILj256EiiEEvT1_PKT0_P22rocsparse_data_status_.has_recursion, 0
	.set _ZN9rocsparseL19check_row_ptr_arrayILj256EiiEEvT1_PKT0_P22rocsparse_data_status_.has_indirect_call, 0
	.section	.AMDGPU.csdata,"",@progbits
; Kernel info:
; codeLenInByte = 136
; TotalNumSgprs: 10
; NumVgprs: 2
; NumAgprs: 0
; TotalNumVgprs: 2
; ScratchSize: 0
; MemoryBound: 0
; FloatMode: 240
; IeeeMode: 1
; LDSByteSize: 0 bytes/workgroup (compile time only)
; SGPRBlocks: 1
; VGPRBlocks: 0
; NumSGPRsForWavesPerEU: 10
; NumVGPRsForWavesPerEU: 2
; AccumOffset: 4
; Occupancy: 8
; WaveLimiterHint : 0
; COMPUTE_PGM_RSRC2:SCRATCH_EN: 0
; COMPUTE_PGM_RSRC2:USER_SGPR: 2
; COMPUTE_PGM_RSRC2:TRAP_HANDLER: 0
; COMPUTE_PGM_RSRC2:TGID_X_EN: 1
; COMPUTE_PGM_RSRC2:TGID_Y_EN: 0
; COMPUTE_PGM_RSRC2:TGID_Z_EN: 0
; COMPUTE_PGM_RSRC2:TIDIG_COMP_CNT: 0
; COMPUTE_PGM_RSRC3_GFX90A:ACCUM_OFFSET: 0
; COMPUTE_PGM_RSRC3_GFX90A:TG_SPLIT: 0
	.section	.text._ZN9rocsparseL20shift_offsets_kernelILj512EiiEEvT1_PKT0_PS2_,"axG",@progbits,_ZN9rocsparseL20shift_offsets_kernelILj512EiiEEvT1_PKT0_PS2_,comdat
	.globl	_ZN9rocsparseL20shift_offsets_kernelILj512EiiEEvT1_PKT0_PS2_ ; -- Begin function _ZN9rocsparseL20shift_offsets_kernelILj512EiiEEvT1_PKT0_PS2_
	.p2align	8
	.type	_ZN9rocsparseL20shift_offsets_kernelILj512EiiEEvT1_PKT0_PS2_,@function
_ZN9rocsparseL20shift_offsets_kernelILj512EiiEEvT1_PKT0_PS2_: ; @_ZN9rocsparseL20shift_offsets_kernelILj512EiiEEvT1_PKT0_PS2_
; %bb.0:
	s_load_dword s3, s[0:1], 0x0
	v_lshl_or_b32 v0, s2, 9, v0
	s_waitcnt lgkmcnt(0)
	v_cmp_gt_i32_e32 vcc, s3, v0
	s_and_saveexec_b64 s[2:3], vcc
	s_cbranch_execz .LBB1_2
; %bb.1:
	s_load_dwordx4 s[4:7], s[0:1], 0x8
	v_ashrrev_i32_e32 v1, 31, v0
	v_lshlrev_b64 v[0:1], 2, v[0:1]
	s_waitcnt lgkmcnt(0)
	v_lshl_add_u64 v[2:3], s[4:5], 0, v[0:1]
	global_load_dword v2, v[2:3], off
	s_load_dword s0, s[4:5], 0x0
	v_lshl_add_u64 v[0:1], s[6:7], 0, v[0:1]
	s_waitcnt vmcnt(0) lgkmcnt(0)
	v_subrev_u32_e32 v2, s0, v2
	global_store_dword v[0:1], v2, off
.LBB1_2:
	s_endpgm
	.section	.rodata,"a",@progbits
	.p2align	6, 0x0
	.amdhsa_kernel _ZN9rocsparseL20shift_offsets_kernelILj512EiiEEvT1_PKT0_PS2_
		.amdhsa_group_segment_fixed_size 0
		.amdhsa_private_segment_fixed_size 0
		.amdhsa_kernarg_size 24
		.amdhsa_user_sgpr_count 2
		.amdhsa_user_sgpr_dispatch_ptr 0
		.amdhsa_user_sgpr_queue_ptr 0
		.amdhsa_user_sgpr_kernarg_segment_ptr 1
		.amdhsa_user_sgpr_dispatch_id 0
		.amdhsa_user_sgpr_kernarg_preload_length 0
		.amdhsa_user_sgpr_kernarg_preload_offset 0
		.amdhsa_user_sgpr_private_segment_size 0
		.amdhsa_uses_dynamic_stack 0
		.amdhsa_enable_private_segment 0
		.amdhsa_system_sgpr_workgroup_id_x 1
		.amdhsa_system_sgpr_workgroup_id_y 0
		.amdhsa_system_sgpr_workgroup_id_z 0
		.amdhsa_system_sgpr_workgroup_info 0
		.amdhsa_system_vgpr_workitem_id 0
		.amdhsa_next_free_vgpr 4
		.amdhsa_next_free_sgpr 8
		.amdhsa_accum_offset 4
		.amdhsa_reserve_vcc 1
		.amdhsa_float_round_mode_32 0
		.amdhsa_float_round_mode_16_64 0
		.amdhsa_float_denorm_mode_32 3
		.amdhsa_float_denorm_mode_16_64 3
		.amdhsa_dx10_clamp 1
		.amdhsa_ieee_mode 1
		.amdhsa_fp16_overflow 0
		.amdhsa_tg_split 0
		.amdhsa_exception_fp_ieee_invalid_op 0
		.amdhsa_exception_fp_denorm_src 0
		.amdhsa_exception_fp_ieee_div_zero 0
		.amdhsa_exception_fp_ieee_overflow 0
		.amdhsa_exception_fp_ieee_underflow 0
		.amdhsa_exception_fp_ieee_inexact 0
		.amdhsa_exception_int_div_zero 0
	.end_amdhsa_kernel
	.section	.text._ZN9rocsparseL20shift_offsets_kernelILj512EiiEEvT1_PKT0_PS2_,"axG",@progbits,_ZN9rocsparseL20shift_offsets_kernelILj512EiiEEvT1_PKT0_PS2_,comdat
.Lfunc_end1:
	.size	_ZN9rocsparseL20shift_offsets_kernelILj512EiiEEvT1_PKT0_PS2_, .Lfunc_end1-_ZN9rocsparseL20shift_offsets_kernelILj512EiiEEvT1_PKT0_PS2_
                                        ; -- End function
	.set _ZN9rocsparseL20shift_offsets_kernelILj512EiiEEvT1_PKT0_PS2_.num_vgpr, 4
	.set _ZN9rocsparseL20shift_offsets_kernelILj512EiiEEvT1_PKT0_PS2_.num_agpr, 0
	.set _ZN9rocsparseL20shift_offsets_kernelILj512EiiEEvT1_PKT0_PS2_.numbered_sgpr, 8
	.set _ZN9rocsparseL20shift_offsets_kernelILj512EiiEEvT1_PKT0_PS2_.num_named_barrier, 0
	.set _ZN9rocsparseL20shift_offsets_kernelILj512EiiEEvT1_PKT0_PS2_.private_seg_size, 0
	.set _ZN9rocsparseL20shift_offsets_kernelILj512EiiEEvT1_PKT0_PS2_.uses_vcc, 1
	.set _ZN9rocsparseL20shift_offsets_kernelILj512EiiEEvT1_PKT0_PS2_.uses_flat_scratch, 0
	.set _ZN9rocsparseL20shift_offsets_kernelILj512EiiEEvT1_PKT0_PS2_.has_dyn_sized_stack, 0
	.set _ZN9rocsparseL20shift_offsets_kernelILj512EiiEEvT1_PKT0_PS2_.has_recursion, 0
	.set _ZN9rocsparseL20shift_offsets_kernelILj512EiiEEvT1_PKT0_PS2_.has_indirect_call, 0
	.section	.AMDGPU.csdata,"",@progbits
; Kernel info:
; codeLenInByte = 108
; TotalNumSgprs: 14
; NumVgprs: 4
; NumAgprs: 0
; TotalNumVgprs: 4
; ScratchSize: 0
; MemoryBound: 0
; FloatMode: 240
; IeeeMode: 1
; LDSByteSize: 0 bytes/workgroup (compile time only)
; SGPRBlocks: 1
; VGPRBlocks: 0
; NumSGPRsForWavesPerEU: 14
; NumVGPRsForWavesPerEU: 4
; AccumOffset: 4
; Occupancy: 8
; WaveLimiterHint : 0
; COMPUTE_PGM_RSRC2:SCRATCH_EN: 0
; COMPUTE_PGM_RSRC2:USER_SGPR: 2
; COMPUTE_PGM_RSRC2:TRAP_HANDLER: 0
; COMPUTE_PGM_RSRC2:TGID_X_EN: 1
; COMPUTE_PGM_RSRC2:TGID_Y_EN: 0
; COMPUTE_PGM_RSRC2:TGID_Z_EN: 0
; COMPUTE_PGM_RSRC2:TIDIG_COMP_CNT: 0
; COMPUTE_PGM_RSRC3_GFX90A:ACCUM_OFFSET: 0
; COMPUTE_PGM_RSRC3_GFX90A:TG_SPLIT: 0
	.section	.text._ZN9rocsparseL25check_matrix_gebsr_deviceILj256EfiiEEv20rocsparse_direction_T2_S2_T1_S2_S2_PKT0_PKS3_PKS2_SA_21rocsparse_index_base_22rocsparse_matrix_type_20rocsparse_fill_mode_23rocsparse_storage_mode_P22rocsparse_data_status_,"axG",@progbits,_ZN9rocsparseL25check_matrix_gebsr_deviceILj256EfiiEEv20rocsparse_direction_T2_S2_T1_S2_S2_PKT0_PKS3_PKS2_SA_21rocsparse_index_base_22rocsparse_matrix_type_20rocsparse_fill_mode_23rocsparse_storage_mode_P22rocsparse_data_status_,comdat
	.globl	_ZN9rocsparseL25check_matrix_gebsr_deviceILj256EfiiEEv20rocsparse_direction_T2_S2_T1_S2_S2_PKT0_PKS3_PKS2_SA_21rocsparse_index_base_22rocsparse_matrix_type_20rocsparse_fill_mode_23rocsparse_storage_mode_P22rocsparse_data_status_ ; -- Begin function _ZN9rocsparseL25check_matrix_gebsr_deviceILj256EfiiEEv20rocsparse_direction_T2_S2_T1_S2_S2_PKT0_PKS3_PKS2_SA_21rocsparse_index_base_22rocsparse_matrix_type_20rocsparse_fill_mode_23rocsparse_storage_mode_P22rocsparse_data_status_
	.p2align	8
	.type	_ZN9rocsparseL25check_matrix_gebsr_deviceILj256EfiiEEv20rocsparse_direction_T2_S2_T1_S2_S2_PKT0_PKS3_PKS2_SA_21rocsparse_index_base_22rocsparse_matrix_type_20rocsparse_fill_mode_23rocsparse_storage_mode_P22rocsparse_data_status_,@function
_ZN9rocsparseL25check_matrix_gebsr_deviceILj256EfiiEEv20rocsparse_direction_T2_S2_T1_S2_S2_PKT0_PKS3_PKS2_SA_21rocsparse_index_base_22rocsparse_matrix_type_20rocsparse_fill_mode_23rocsparse_storage_mode_P22rocsparse_data_status_: ; @_ZN9rocsparseL25check_matrix_gebsr_deviceILj256EfiiEEv20rocsparse_direction_T2_S2_T1_S2_S2_PKT0_PKS3_PKS2_SA_21rocsparse_index_base_22rocsparse_matrix_type_20rocsparse_fill_mode_23rocsparse_storage_mode_P22rocsparse_data_status_
; %bb.0:
	s_load_dwordx4 s[16:19], s[0:1], 0x0
	v_lshl_or_b32 v0, s2, 8, v0
	s_waitcnt lgkmcnt(0)
	v_cmp_gt_i32_e32 vcc, s17, v0
	s_and_saveexec_b64 s[2:3], vcc
	s_cbranch_execz .LBB2_60
; %bb.1:
	s_load_dwordx2 s[2:3], s[0:1], 0x20
	v_ashrrev_i32_e32 v1, 31, v0
	s_mov_b64 s[6:7], -1
	v_mov_b32_e32 v14, 3
	s_waitcnt lgkmcnt(0)
	v_lshl_add_u64 v[2:3], v[0:1], 2, s[2:3]
	global_load_dwordx2 v[2:3], v[2:3], off
	s_load_dword s2, s[2:3], 0x0
	s_waitcnt vmcnt(0) lgkmcnt(0)
	v_subrev_u32_e32 v10, s2, v3
	v_cmp_lt_i32_e32 vcc, v3, v2
	v_cmp_gt_i32_e64 s[4:5], 0, v10
	v_subrev_u32_e32 v1, s2, v2
	s_or_b64 s[4:5], s[4:5], vcc
	v_cmp_lt_i32_e64 s[2:3], -1, v1
	s_xor_b64 s[4:5], s[4:5], -1
	s_and_b64 s[2:3], s[2:3], s[4:5]
	s_and_saveexec_b64 s[24:25], s[2:3]
	s_cbranch_execz .LBB2_58
; %bb.2:
	v_cmp_lt_i32_e32 vcc, v2, v3
	s_mov_b64 s[2:3], 0
	v_mov_b32_e32 v14, 3
	s_and_saveexec_b64 s[26:27], vcc
	s_cbranch_execz .LBB2_57
; %bb.3:
	s_load_dwordx4 s[20:23], s[0:1], 0x10
	s_load_dwordx8 s[8:15], s[0:1], 0x28
	s_cmp_lg_u32 s16, 0
	s_cselect_b64 s[28:29], -1, 0
	s_mov_b32 s17, 0
	s_waitcnt lgkmcnt(0)
	s_cmp_gt_i32 s21, 0
	s_mul_i32 s2, s21, s20
	s_cselect_b64 s[30:31], -1, 0
	s_cmp_gt_i32 s20, 0
	v_mad_u64_u32 v[2:3], s[4:5], s2, v1, 0
	s_cselect_b64 s[34:35], -1, 0
	s_cmp_lg_u32 s13, 0
	s_mul_hi_i32 s3, s21, s20
	v_mov_b32_e32 v4, v3
	s_cselect_b64 s[36:37], -1, 0
	s_cmp_lg_u32 s14, 0
	v_mad_u64_u32 v[4:5], s[4:5], s3, v1, v[4:5]
	s_cselect_b64 s[38:39], -1, 0
	s_cmp_lg_u32 s15, 0
	v_mov_b32_e32 v3, v4
	v_cndmask_b32_e64 v4, 0, 1, s[34:35]
	s_cselect_b64 s[14:15], -1, 0
	v_lshl_add_u64 v[2:3], v[2:3], 2, s[22:23]
	s_lshl_b64 s[40:41], s[2:3], 2
	s_mov_b64 s[22:23], 0
	v_mov_b32_e32 v5, 0
	v_cmp_ne_u32_e64 s[2:3], 1, v4
	s_mov_b32 s13, 0x7f800000
	v_mov_b32_e32 v4, v1
                                        ; implicit-def: $sgpr42_sgpr43
                                        ; implicit-def: $sgpr44_sgpr45
                                        ; implicit-def: $sgpr46_sgpr47
	s_branch .LBB2_9
.LBB2_4:                                ;   in Loop: Header=BB2_9 Depth=1
	s_or_b64 exec, exec, s[58:59]
	s_orn2_b64 s[58:59], s[6:7], exec
	s_orn2_b64 s[4:5], s[4:5], exec
.LBB2_5:                                ;   in Loop: Header=BB2_9 Depth=1
	s_or_b64 exec, exec, s[56:57]
	s_orn2_b64 s[56:57], s[58:59], exec
	s_orn2_b64 s[6:7], s[4:5], exec
.LBB2_6:                                ;   in Loop: Header=BB2_9 Depth=1
	s_or_b64 exec, exec, s[54:55]
	s_orn2_b64 s[54:55], s[56:57], exec
	s_orn2_b64 s[4:5], s[6:7], exec
.LBB2_7:                                ;   in Loop: Header=BB2_9 Depth=1
	s_or_b64 exec, exec, s[50:51]
	s_andn2_b64 s[6:7], s[46:47], exec
	s_and_b64 s[46:47], s[54:55], exec
	s_or_b64 s[46:47], s[6:7], s[46:47]
	s_andn2_b64 s[6:7], s[44:45], exec
	s_and_b64 s[4:5], s[4:5], exec
	s_or_b64 s[44:45], s[6:7], s[4:5]
.LBB2_8:                                ;   in Loop: Header=BB2_9 Depth=1
	s_or_b64 exec, exec, s[48:49]
	s_and_b64 s[4:5], exec, s[44:45]
	s_or_b64 s[22:23], s[4:5], s[22:23]
	s_andn2_b64 s[4:5], s[42:43], exec
	s_and_b64 s[6:7], s[46:47], exec
	s_or_b64 s[42:43], s[4:5], s[6:7]
	s_andn2_b64 exec, exec, s[22:23]
	s_cbranch_execz .LBB2_56
.LBB2_9:                                ; =>This Loop Header: Depth=1
                                        ;     Child Loop BB2_33 Depth 2
                                        ;       Child Loop BB2_37 Depth 3
                                        ;     Child Loop BB2_17 Depth 2
                                        ;       Child Loop BB2_21 Depth 3
	v_lshl_add_u64 v[6:7], v[4:5], 2, s[8:9]
	global_load_dword v11, v[6:7], off
	v_mov_b32_e32 v14, 4
	s_or_b64 s[46:47], s[46:47], exec
	s_or_b64 s[44:45], s[44:45], exec
	s_waitcnt vmcnt(0)
	v_subrev_u32_e32 v12, s12, v11
	v_cmp_lt_i32_e32 vcc, -1, v12
	v_cmp_gt_i32_e64 s[4:5], s18, v12
	s_and_b64 s[4:5], vcc, s[4:5]
	s_and_saveexec_b64 s[48:49], s[4:5]
	s_cbranch_execz .LBB2_8
; %bb.10:                               ;   in Loop: Header=BB2_9 Depth=1
	v_cmp_le_i32_e64 s[52:53], v4, v1
	v_cmp_gt_i32_e32 vcc, v4, v1
	v_mov_b32_e32 v14, 4
	s_mov_b64 s[6:7], s[52:53]
	s_and_saveexec_b64 s[50:51], vcc
	s_cbranch_execz .LBB2_12
; %bb.11:                               ;   in Loop: Header=BB2_9 Depth=1
	v_lshl_add_u64 v[8:9], v[4:5], 2, s[10:11]
	global_load_dwordx2 v[8:9], v[8:9], off offset:-4
	v_mov_b32_e32 v14, 5
	s_waitcnt vmcnt(0)
	v_subrev_u32_e32 v13, s12, v8
	v_cmp_lt_i32_e64 s[4:5], -1, v13
	v_cmp_gt_i32_e64 s[6:7], s18, v13
	s_and_b64 s[4:5], s[4:5], s[6:7]
	v_cmp_ne_u32_e32 vcc, v9, v8
	s_xor_b64 s[4:5], s[4:5], -1
	s_or_b64 s[4:5], vcc, s[4:5]
	s_andn2_b64 s[6:7], s[52:53], exec
	s_and_b64 s[4:5], s[4:5], exec
	s_or_b64 s[6:7], s[6:7], s[4:5]
.LBB2_12:                               ;   in Loop: Header=BB2_9 Depth=1
	s_or_b64 exec, exec, s[50:51]
	s_mov_b64 s[4:5], -1
	s_mov_b64 s[54:55], -1
	s_and_saveexec_b64 s[50:51], s[6:7]
	s_cbranch_execz .LBB2_7
; %bb.13:                               ;   in Loop: Header=BB2_9 Depth=1
	s_and_b64 vcc, exec, s[28:29]
	s_cbranch_vccz .LBB2_29
; %bb.14:                               ;   in Loop: Header=BB2_9 Depth=1
	s_and_b64 vcc, exec, s[30:31]
	s_cbranch_vccz .LBB2_28
; %bb.15:                               ;   in Loop: Header=BB2_9 Depth=1
	s_mov_b32 s16, 0
	s_mov_b64 s[6:7], 0
	s_mov_b32 s19, s16
                                        ; implicit-def: $sgpr4_sgpr5
	s_branch .LBB2_17
.LBB2_16:                               ;   in Loop: Header=BB2_17 Depth=2
	s_or_b64 exec, exec, s[60:61]
	s_xor_b64 s[56:57], s[58:59], -1
	s_and_b64 s[54:55], exec, s[54:55]
	s_or_b64 s[6:7], s[54:55], s[6:7]
	s_andn2_b64 s[4:5], s[4:5], exec
	s_and_b64 s[54:55], s[56:57], exec
	s_or_b64 s[4:5], s[4:5], s[54:55]
	s_andn2_b64 exec, exec, s[6:7]
	s_cbranch_execz .LBB2_27
.LBB2_17:                               ;   Parent Loop BB2_9 Depth=1
                                        ; =>  This Loop Header: Depth=2
                                        ;       Child Loop BB2_21 Depth 3
	s_mov_b64 s[54:55], -1
	s_and_b64 vcc, exec, s[2:3]
	s_mov_b64 s[56:57], -1
                                        ; implicit-def: $vgpr14
	s_cbranch_vccnz .LBB2_25
; %bb.18:                               ;   in Loop: Header=BB2_17 Depth=2
	v_lshl_add_u64 v[8:9], s[16:17], 2, v[2:3]
	s_mov_b64 s[58:59], 0
	s_mov_b32 s33, s20
                                        ; implicit-def: $sgpr56_sgpr57
                                        ; implicit-def: $sgpr60_sgpr61
                                        ; implicit-def: $sgpr62_sgpr63
	s_branch .LBB2_21
.LBB2_19:                               ;   in Loop: Header=BB2_21 Depth=3
	s_or_b64 exec, exec, s[70:71]
	s_andn2_b64 s[62:63], s[62:63], exec
	s_and_b64 s[68:69], s[68:69], exec
	s_andn2_b64 s[60:61], s[60:61], exec
	s_and_b64 s[66:67], s[66:67], exec
	v_mov_b32_e32 v14, 2
	s_or_b64 s[62:63], s[62:63], s[68:69]
	s_or_b64 s[60:61], s[60:61], s[66:67]
.LBB2_20:                               ;   in Loop: Header=BB2_21 Depth=3
	s_or_b64 exec, exec, s[64:65]
	s_xor_b64 s[64:65], s[62:63], -1
	s_and_b64 s[66:67], exec, s[60:61]
	s_or_b64 s[58:59], s[66:67], s[58:59]
	s_andn2_b64 s[56:57], s[56:57], exec
	s_and_b64 s[64:65], s[64:65], exec
	s_or_b64 s[56:57], s[56:57], s[64:65]
	s_andn2_b64 exec, exec, s[58:59]
	s_cbranch_execz .LBB2_24
.LBB2_21:                               ;   Parent Loop BB2_9 Depth=1
                                        ;     Parent Loop BB2_17 Depth=2
                                        ; =>    This Inner Loop Header: Depth=3
	global_load_dword v13, v[8:9], off
	v_mov_b32_e32 v14, 1
	s_or_b64 s[62:63], s[62:63], exec
	s_or_b64 s[60:61], s[60:61], exec
	s_waitcnt vmcnt(0)
	v_cmp_neq_f32_e32 vcc, s13, v13
	s_and_saveexec_b64 s[64:65], vcc
	s_xor_b64 s[64:65], exec, s[64:65]
	s_cbranch_execz .LBB2_20
; %bb.22:                               ;   in Loop: Header=BB2_21 Depth=3
	v_cmp_o_f32_e32 vcc, v13, v13
	s_mov_b64 s[66:67], -1
	s_mov_b64 s[68:69], -1
	s_and_saveexec_b64 s[70:71], vcc
	s_cbranch_execz .LBB2_19
; %bb.23:                               ;   in Loop: Header=BB2_21 Depth=3
	s_add_i32 s33, s33, -1
	s_cmp_eq_u32 s33, 0
	s_cselect_b64 s[66:67], -1, 0
	v_lshl_add_u64 v[8:9], v[8:9], 0, 4
	s_xor_b64 s[68:69], exec, -1
	s_orn2_b64 s[66:67], s[66:67], exec
	s_branch .LBB2_19
.LBB2_24:                               ;   in Loop: Header=BB2_17 Depth=2
	s_or_b64 exec, exec, s[58:59]
.LBB2_25:                               ;   in Loop: Header=BB2_17 Depth=2
	s_mov_b64 s[58:59], -1
	s_and_saveexec_b64 s[60:61], s[56:57]
	s_cbranch_execz .LBB2_16
; %bb.26:                               ;   in Loop: Header=BB2_17 Depth=2
	s_add_i32 s19, s19, 1
	s_add_i32 s16, s16, s20
	s_cmp_eq_u32 s19, s21
	s_cselect_b64 s[54:55], -1, 0
	s_xor_b64 s[58:59], exec, -1
	s_orn2_b64 s[54:55], s[54:55], exec
	s_branch .LBB2_16
.LBB2_27:                               ;   in Loop: Header=BB2_9 Depth=1
	s_or_b64 exec, exec, s[6:7]
.LBB2_28:                               ;   in Loop: Header=BB2_9 Depth=1
	s_branch .LBB2_44
.LBB2_29:                               ;   in Loop: Header=BB2_9 Depth=1
	s_mov_b64 s[4:5], 0
	s_cbranch_execz .LBB2_44
; %bb.30:                               ;   in Loop: Header=BB2_9 Depth=1
	s_and_b64 vcc, exec, s[34:35]
	s_cbranch_vccz .LBB2_54
; %bb.31:                               ;   in Loop: Header=BB2_9 Depth=1
	s_mov_b32 s16, 0
	s_mov_b64 s[6:7], 0
	s_mov_b32 s19, s16
                                        ; implicit-def: $sgpr4_sgpr5
	s_branch .LBB2_33
.LBB2_32:                               ;   in Loop: Header=BB2_33 Depth=2
	s_or_b64 exec, exec, s[60:61]
	s_xor_b64 s[56:57], s[58:59], -1
	s_and_b64 s[54:55], exec, s[54:55]
	s_or_b64 s[6:7], s[54:55], s[6:7]
	s_andn2_b64 s[4:5], s[4:5], exec
	s_and_b64 s[54:55], s[56:57], exec
	s_or_b64 s[4:5], s[4:5], s[54:55]
	s_andn2_b64 exec, exec, s[6:7]
	s_cbranch_execz .LBB2_43
.LBB2_33:                               ;   Parent Loop BB2_9 Depth=1
                                        ; =>  This Loop Header: Depth=2
                                        ;       Child Loop BB2_37 Depth 3
	s_mov_b64 s[54:55], -1
	s_andn2_b64 vcc, exec, s[30:31]
	s_mov_b64 s[56:57], -1
                                        ; implicit-def: $vgpr14
	s_cbranch_vccnz .LBB2_41
; %bb.34:                               ;   in Loop: Header=BB2_33 Depth=2
	v_lshl_add_u64 v[8:9], s[16:17], 2, v[2:3]
	s_mov_b64 s[58:59], 0
	s_mov_b32 s33, s21
                                        ; implicit-def: $sgpr56_sgpr57
                                        ; implicit-def: $sgpr60_sgpr61
                                        ; implicit-def: $sgpr62_sgpr63
	s_branch .LBB2_37
.LBB2_35:                               ;   in Loop: Header=BB2_37 Depth=3
	s_or_b64 exec, exec, s[70:71]
	s_andn2_b64 s[62:63], s[62:63], exec
	s_and_b64 s[68:69], s[68:69], exec
	s_andn2_b64 s[60:61], s[60:61], exec
	s_and_b64 s[66:67], s[66:67], exec
	v_mov_b32_e32 v14, 2
	s_or_b64 s[62:63], s[62:63], s[68:69]
	s_or_b64 s[60:61], s[60:61], s[66:67]
.LBB2_36:                               ;   in Loop: Header=BB2_37 Depth=3
	s_or_b64 exec, exec, s[64:65]
	s_xor_b64 s[64:65], s[62:63], -1
	s_and_b64 s[66:67], exec, s[60:61]
	s_or_b64 s[58:59], s[66:67], s[58:59]
	s_andn2_b64 s[56:57], s[56:57], exec
	s_and_b64 s[64:65], s[64:65], exec
	s_or_b64 s[56:57], s[56:57], s[64:65]
	s_andn2_b64 exec, exec, s[58:59]
	s_cbranch_execz .LBB2_40
.LBB2_37:                               ;   Parent Loop BB2_9 Depth=1
                                        ;     Parent Loop BB2_33 Depth=2
                                        ; =>    This Inner Loop Header: Depth=3
	global_load_dword v13, v[8:9], off
	v_mov_b32_e32 v14, 1
	s_or_b64 s[62:63], s[62:63], exec
	s_or_b64 s[60:61], s[60:61], exec
	s_waitcnt vmcnt(0)
	v_cmp_neq_f32_e32 vcc, s13, v13
	s_and_saveexec_b64 s[64:65], vcc
	s_xor_b64 s[64:65], exec, s[64:65]
	s_cbranch_execz .LBB2_36
; %bb.38:                               ;   in Loop: Header=BB2_37 Depth=3
	v_cmp_o_f32_e32 vcc, v13, v13
	s_mov_b64 s[66:67], -1
	s_mov_b64 s[68:69], -1
	s_and_saveexec_b64 s[70:71], vcc
	s_cbranch_execz .LBB2_35
; %bb.39:                               ;   in Loop: Header=BB2_37 Depth=3
	s_add_i32 s33, s33, -1
	s_cmp_eq_u32 s33, 0
	s_cselect_b64 s[66:67], -1, 0
	v_lshl_add_u64 v[8:9], v[8:9], 0, 4
	s_xor_b64 s[68:69], exec, -1
	s_orn2_b64 s[66:67], s[66:67], exec
	s_branch .LBB2_35
.LBB2_40:                               ;   in Loop: Header=BB2_33 Depth=2
	s_or_b64 exec, exec, s[58:59]
.LBB2_41:                               ;   in Loop: Header=BB2_33 Depth=2
	s_mov_b64 s[58:59], -1
	s_and_saveexec_b64 s[60:61], s[56:57]
	s_cbranch_execz .LBB2_32
; %bb.42:                               ;   in Loop: Header=BB2_33 Depth=2
	s_add_i32 s19, s19, 1
	s_add_i32 s16, s16, s21
	s_cmp_eq_u32 s19, s20
	s_cselect_b64 s[54:55], -1, 0
	s_xor_b64 s[58:59], exec, -1
	s_orn2_b64 s[54:55], s[54:55], exec
	s_branch .LBB2_32
.LBB2_43:                               ;   in Loop: Header=BB2_9 Depth=1
	s_or_b64 exec, exec, s[6:7]
.LBB2_44:                               ;   in Loop: Header=BB2_9 Depth=1
	s_mov_b64 s[6:7], -1
	s_mov_b64 s[56:57], -1
	s_and_saveexec_b64 s[54:55], s[4:5]
	s_cbranch_execz .LBB2_6
.LBB2_45:                               ;   in Loop: Header=BB2_9 Depth=1
	s_mov_b64 s[4:5], -1
	s_and_b64 vcc, exec, s[36:37]
	s_cbranch_vccz .LBB2_49
; %bb.46:                               ;   in Loop: Header=BB2_9 Depth=1
	s_and_b64 vcc, exec, s[38:39]
	s_cbranch_vccz .LBB2_55
; %bb.47:                               ;   in Loop: Header=BB2_9 Depth=1
	v_cmp_le_i32_e32 vcc, v0, v12
	v_mov_b32_e32 v14, 7
	s_and_b64 s[6:7], vcc, exec
	s_cbranch_execnz .LBB2_49
.LBB2_48:                               ;   in Loop: Header=BB2_9 Depth=1
	v_cmp_ge_i32_e32 vcc, v0, v12
	s_andn2_b64 s[6:7], s[6:7], exec
	s_and_b64 s[56:57], vcc, exec
	v_mov_b32_e32 v14, 7
	s_or_b64 s[6:7], s[6:7], s[56:57]
.LBB2_49:                               ;   in Loop: Header=BB2_9 Depth=1
	s_mov_b64 s[58:59], -1
	s_and_saveexec_b64 s[56:57], s[6:7]
	s_cbranch_execz .LBB2_5
; %bb.50:                               ;   in Loop: Header=BB2_9 Depth=1
	s_or_b64 s[52:53], s[14:15], s[52:53]
	s_xor_b64 s[4:5], s[52:53], -1
	s_and_saveexec_b64 s[58:59], s[4:5]
	s_cbranch_execz .LBB2_52
; %bb.51:                               ;   in Loop: Header=BB2_9 Depth=1
	global_load_dword v6, v[6:7], off offset:-4
	v_mov_b32_e32 v14, 6
	s_waitcnt vmcnt(0)
	v_subrev_u32_e32 v7, s12, v6
	v_cmp_lt_i32_e64 s[4:5], -1, v7
	v_cmp_gt_i32_e64 s[6:7], s18, v7
	s_and_b64 s[4:5], s[4:5], s[6:7]
	v_cmp_gt_i32_e32 vcc, v11, v6
	s_xor_b64 s[4:5], s[4:5], -1
	s_or_b64 s[4:5], vcc, s[4:5]
	s_andn2_b64 s[6:7], s[52:53], exec
	s_and_b64 s[4:5], s[4:5], exec
	s_or_b64 s[52:53], s[6:7], s[4:5]
.LBB2_52:                               ;   in Loop: Header=BB2_9 Depth=1
	s_or_b64 exec, exec, s[58:59]
	s_mov_b64 s[4:5], -1
	s_mov_b64 s[6:7], -1
	s_and_saveexec_b64 s[58:59], s[52:53]
	s_cbranch_execz .LBB2_4
; %bb.53:                               ;   in Loop: Header=BB2_9 Depth=1
	v_add_u32_e32 v4, 1, v4
	v_cmp_ge_i32_e32 vcc, v4, v10
	v_lshl_add_u64 v[2:3], v[2:3], 0, s[40:41]
	s_xor_b64 s[6:7], exec, -1
	s_orn2_b64 s[4:5], vcc, exec
	s_branch .LBB2_4
.LBB2_54:                               ;   in Loop: Header=BB2_9 Depth=1
	s_mov_b64 s[4:5], -1
	s_mov_b64 s[6:7], -1
	;; [unrolled: 1-line block ×3, first 2 shown]
	s_and_saveexec_b64 s[54:55], s[4:5]
	s_cbranch_execz .LBB2_6
	s_branch .LBB2_45
.LBB2_55:                               ;   in Loop: Header=BB2_9 Depth=1
	s_mov_b64 s[6:7], 0
	s_andn2_b64 vcc, exec, s[56:57]
	s_cbranch_vccz .LBB2_48
	s_branch .LBB2_49
.LBB2_56:
	s_or_b64 exec, exec, s[22:23]
	s_and_b64 s[2:3], s[42:43], exec
.LBB2_57:
	s_or_b64 exec, exec, s[26:27]
	s_orn2_b64 s[6:7], s[2:3], exec
.LBB2_58:
	s_or_b64 exec, exec, s[24:25]
	s_and_b64 exec, exec, s[6:7]
	s_cbranch_execz .LBB2_60
; %bb.59:
	s_load_dwordx2 s[0:1], s[0:1], 0x48
	v_mov_b32_e32 v0, 0
	s_waitcnt lgkmcnt(0)
	global_store_dword v0, v14, s[0:1]
.LBB2_60:
	s_endpgm
	.section	.rodata,"a",@progbits
	.p2align	6, 0x0
	.amdhsa_kernel _ZN9rocsparseL25check_matrix_gebsr_deviceILj256EfiiEEv20rocsparse_direction_T2_S2_T1_S2_S2_PKT0_PKS3_PKS2_SA_21rocsparse_index_base_22rocsparse_matrix_type_20rocsparse_fill_mode_23rocsparse_storage_mode_P22rocsparse_data_status_
		.amdhsa_group_segment_fixed_size 0
		.amdhsa_private_segment_fixed_size 0
		.amdhsa_kernarg_size 80
		.amdhsa_user_sgpr_count 2
		.amdhsa_user_sgpr_dispatch_ptr 0
		.amdhsa_user_sgpr_queue_ptr 0
		.amdhsa_user_sgpr_kernarg_segment_ptr 1
		.amdhsa_user_sgpr_dispatch_id 0
		.amdhsa_user_sgpr_kernarg_preload_length 0
		.amdhsa_user_sgpr_kernarg_preload_offset 0
		.amdhsa_user_sgpr_private_segment_size 0
		.amdhsa_uses_dynamic_stack 0
		.amdhsa_enable_private_segment 0
		.amdhsa_system_sgpr_workgroup_id_x 1
		.amdhsa_system_sgpr_workgroup_id_y 0
		.amdhsa_system_sgpr_workgroup_id_z 0
		.amdhsa_system_sgpr_workgroup_info 0
		.amdhsa_system_vgpr_workitem_id 0
		.amdhsa_next_free_vgpr 15
		.amdhsa_next_free_sgpr 72
		.amdhsa_accum_offset 16
		.amdhsa_reserve_vcc 1
		.amdhsa_float_round_mode_32 0
		.amdhsa_float_round_mode_16_64 0
		.amdhsa_float_denorm_mode_32 3
		.amdhsa_float_denorm_mode_16_64 3
		.amdhsa_dx10_clamp 1
		.amdhsa_ieee_mode 1
		.amdhsa_fp16_overflow 0
		.amdhsa_tg_split 0
		.amdhsa_exception_fp_ieee_invalid_op 0
		.amdhsa_exception_fp_denorm_src 0
		.amdhsa_exception_fp_ieee_div_zero 0
		.amdhsa_exception_fp_ieee_overflow 0
		.amdhsa_exception_fp_ieee_underflow 0
		.amdhsa_exception_fp_ieee_inexact 0
		.amdhsa_exception_int_div_zero 0
	.end_amdhsa_kernel
	.section	.text._ZN9rocsparseL25check_matrix_gebsr_deviceILj256EfiiEEv20rocsparse_direction_T2_S2_T1_S2_S2_PKT0_PKS3_PKS2_SA_21rocsparse_index_base_22rocsparse_matrix_type_20rocsparse_fill_mode_23rocsparse_storage_mode_P22rocsparse_data_status_,"axG",@progbits,_ZN9rocsparseL25check_matrix_gebsr_deviceILj256EfiiEEv20rocsparse_direction_T2_S2_T1_S2_S2_PKT0_PKS3_PKS2_SA_21rocsparse_index_base_22rocsparse_matrix_type_20rocsparse_fill_mode_23rocsparse_storage_mode_P22rocsparse_data_status_,comdat
.Lfunc_end2:
	.size	_ZN9rocsparseL25check_matrix_gebsr_deviceILj256EfiiEEv20rocsparse_direction_T2_S2_T1_S2_S2_PKT0_PKS3_PKS2_SA_21rocsparse_index_base_22rocsparse_matrix_type_20rocsparse_fill_mode_23rocsparse_storage_mode_P22rocsparse_data_status_, .Lfunc_end2-_ZN9rocsparseL25check_matrix_gebsr_deviceILj256EfiiEEv20rocsparse_direction_T2_S2_T1_S2_S2_PKT0_PKS3_PKS2_SA_21rocsparse_index_base_22rocsparse_matrix_type_20rocsparse_fill_mode_23rocsparse_storage_mode_P22rocsparse_data_status_
                                        ; -- End function
	.set _ZN9rocsparseL25check_matrix_gebsr_deviceILj256EfiiEEv20rocsparse_direction_T2_S2_T1_S2_S2_PKT0_PKS3_PKS2_SA_21rocsparse_index_base_22rocsparse_matrix_type_20rocsparse_fill_mode_23rocsparse_storage_mode_P22rocsparse_data_status_.num_vgpr, 15
	.set _ZN9rocsparseL25check_matrix_gebsr_deviceILj256EfiiEEv20rocsparse_direction_T2_S2_T1_S2_S2_PKT0_PKS3_PKS2_SA_21rocsparse_index_base_22rocsparse_matrix_type_20rocsparse_fill_mode_23rocsparse_storage_mode_P22rocsparse_data_status_.num_agpr, 0
	.set _ZN9rocsparseL25check_matrix_gebsr_deviceILj256EfiiEEv20rocsparse_direction_T2_S2_T1_S2_S2_PKT0_PKS3_PKS2_SA_21rocsparse_index_base_22rocsparse_matrix_type_20rocsparse_fill_mode_23rocsparse_storage_mode_P22rocsparse_data_status_.numbered_sgpr, 72
	.set _ZN9rocsparseL25check_matrix_gebsr_deviceILj256EfiiEEv20rocsparse_direction_T2_S2_T1_S2_S2_PKT0_PKS3_PKS2_SA_21rocsparse_index_base_22rocsparse_matrix_type_20rocsparse_fill_mode_23rocsparse_storage_mode_P22rocsparse_data_status_.num_named_barrier, 0
	.set _ZN9rocsparseL25check_matrix_gebsr_deviceILj256EfiiEEv20rocsparse_direction_T2_S2_T1_S2_S2_PKT0_PKS3_PKS2_SA_21rocsparse_index_base_22rocsparse_matrix_type_20rocsparse_fill_mode_23rocsparse_storage_mode_P22rocsparse_data_status_.private_seg_size, 0
	.set _ZN9rocsparseL25check_matrix_gebsr_deviceILj256EfiiEEv20rocsparse_direction_T2_S2_T1_S2_S2_PKT0_PKS3_PKS2_SA_21rocsparse_index_base_22rocsparse_matrix_type_20rocsparse_fill_mode_23rocsparse_storage_mode_P22rocsparse_data_status_.uses_vcc, 1
	.set _ZN9rocsparseL25check_matrix_gebsr_deviceILj256EfiiEEv20rocsparse_direction_T2_S2_T1_S2_S2_PKT0_PKS3_PKS2_SA_21rocsparse_index_base_22rocsparse_matrix_type_20rocsparse_fill_mode_23rocsparse_storage_mode_P22rocsparse_data_status_.uses_flat_scratch, 0
	.set _ZN9rocsparseL25check_matrix_gebsr_deviceILj256EfiiEEv20rocsparse_direction_T2_S2_T1_S2_S2_PKT0_PKS3_PKS2_SA_21rocsparse_index_base_22rocsparse_matrix_type_20rocsparse_fill_mode_23rocsparse_storage_mode_P22rocsparse_data_status_.has_dyn_sized_stack, 0
	.set _ZN9rocsparseL25check_matrix_gebsr_deviceILj256EfiiEEv20rocsparse_direction_T2_S2_T1_S2_S2_PKT0_PKS3_PKS2_SA_21rocsparse_index_base_22rocsparse_matrix_type_20rocsparse_fill_mode_23rocsparse_storage_mode_P22rocsparse_data_status_.has_recursion, 0
	.set _ZN9rocsparseL25check_matrix_gebsr_deviceILj256EfiiEEv20rocsparse_direction_T2_S2_T1_S2_S2_PKT0_PKS3_PKS2_SA_21rocsparse_index_base_22rocsparse_matrix_type_20rocsparse_fill_mode_23rocsparse_storage_mode_P22rocsparse_data_status_.has_indirect_call, 0
	.section	.AMDGPU.csdata,"",@progbits
; Kernel info:
; codeLenInByte = 1520
; TotalNumSgprs: 78
; NumVgprs: 15
; NumAgprs: 0
; TotalNumVgprs: 15
; ScratchSize: 0
; MemoryBound: 0
; FloatMode: 240
; IeeeMode: 1
; LDSByteSize: 0 bytes/workgroup (compile time only)
; SGPRBlocks: 9
; VGPRBlocks: 1
; NumSGPRsForWavesPerEU: 78
; NumVGPRsForWavesPerEU: 15
; AccumOffset: 16
; Occupancy: 8
; WaveLimiterHint : 0
; COMPUTE_PGM_RSRC2:SCRATCH_EN: 0
; COMPUTE_PGM_RSRC2:USER_SGPR: 2
; COMPUTE_PGM_RSRC2:TRAP_HANDLER: 0
; COMPUTE_PGM_RSRC2:TGID_X_EN: 1
; COMPUTE_PGM_RSRC2:TGID_Y_EN: 0
; COMPUTE_PGM_RSRC2:TGID_Z_EN: 0
; COMPUTE_PGM_RSRC2:TIDIG_COMP_CNT: 0
; COMPUTE_PGM_RSRC3_GFX90A:ACCUM_OFFSET: 3
; COMPUTE_PGM_RSRC3_GFX90A:TG_SPLIT: 0
	.section	.text._ZN9rocsparseL25check_matrix_gebsr_deviceILj256EdiiEEv20rocsparse_direction_T2_S2_T1_S2_S2_PKT0_PKS3_PKS2_SA_21rocsparse_index_base_22rocsparse_matrix_type_20rocsparse_fill_mode_23rocsparse_storage_mode_P22rocsparse_data_status_,"axG",@progbits,_ZN9rocsparseL25check_matrix_gebsr_deviceILj256EdiiEEv20rocsparse_direction_T2_S2_T1_S2_S2_PKT0_PKS3_PKS2_SA_21rocsparse_index_base_22rocsparse_matrix_type_20rocsparse_fill_mode_23rocsparse_storage_mode_P22rocsparse_data_status_,comdat
	.globl	_ZN9rocsparseL25check_matrix_gebsr_deviceILj256EdiiEEv20rocsparse_direction_T2_S2_T1_S2_S2_PKT0_PKS3_PKS2_SA_21rocsparse_index_base_22rocsparse_matrix_type_20rocsparse_fill_mode_23rocsparse_storage_mode_P22rocsparse_data_status_ ; -- Begin function _ZN9rocsparseL25check_matrix_gebsr_deviceILj256EdiiEEv20rocsparse_direction_T2_S2_T1_S2_S2_PKT0_PKS3_PKS2_SA_21rocsparse_index_base_22rocsparse_matrix_type_20rocsparse_fill_mode_23rocsparse_storage_mode_P22rocsparse_data_status_
	.p2align	8
	.type	_ZN9rocsparseL25check_matrix_gebsr_deviceILj256EdiiEEv20rocsparse_direction_T2_S2_T1_S2_S2_PKT0_PKS3_PKS2_SA_21rocsparse_index_base_22rocsparse_matrix_type_20rocsparse_fill_mode_23rocsparse_storage_mode_P22rocsparse_data_status_,@function
_ZN9rocsparseL25check_matrix_gebsr_deviceILj256EdiiEEv20rocsparse_direction_T2_S2_T1_S2_S2_PKT0_PKS3_PKS2_SA_21rocsparse_index_base_22rocsparse_matrix_type_20rocsparse_fill_mode_23rocsparse_storage_mode_P22rocsparse_data_status_: ; @_ZN9rocsparseL25check_matrix_gebsr_deviceILj256EdiiEEv20rocsparse_direction_T2_S2_T1_S2_S2_PKT0_PKS3_PKS2_SA_21rocsparse_index_base_22rocsparse_matrix_type_20rocsparse_fill_mode_23rocsparse_storage_mode_P22rocsparse_data_status_
; %bb.0:
	s_load_dwordx4 s[16:19], s[0:1], 0x0
	v_lshl_or_b32 v0, s2, 8, v0
	s_waitcnt lgkmcnt(0)
	v_cmp_gt_i32_e32 vcc, s17, v0
	s_and_saveexec_b64 s[2:3], vcc
	s_cbranch_execz .LBB3_60
; %bb.1:
	s_load_dwordx2 s[2:3], s[0:1], 0x20
	v_ashrrev_i32_e32 v1, 31, v0
	s_mov_b64 s[6:7], -1
	v_mov_b32_e32 v15, 3
	s_waitcnt lgkmcnt(0)
	v_lshl_add_u64 v[2:3], v[0:1], 2, s[2:3]
	global_load_dwordx2 v[2:3], v[2:3], off
	s_load_dword s2, s[2:3], 0x0
	s_waitcnt vmcnt(0) lgkmcnt(0)
	v_subrev_u32_e32 v12, s2, v3
	v_cmp_lt_i32_e32 vcc, v3, v2
	v_cmp_gt_i32_e64 s[4:5], 0, v12
	v_subrev_u32_e32 v1, s2, v2
	s_or_b64 s[4:5], s[4:5], vcc
	v_cmp_lt_i32_e64 s[2:3], -1, v1
	s_xor_b64 s[4:5], s[4:5], -1
	s_and_b64 s[2:3], s[2:3], s[4:5]
	s_and_saveexec_b64 s[24:25], s[2:3]
	s_cbranch_execz .LBB3_58
; %bb.2:
	v_cmp_lt_i32_e32 vcc, v2, v3
	s_mov_b64 s[2:3], 0
	v_mov_b32_e32 v15, 3
	s_and_saveexec_b64 s[26:27], vcc
	s_cbranch_execz .LBB3_57
; %bb.3:
	s_load_dwordx4 s[20:23], s[0:1], 0x10
	s_load_dwordx8 s[8:15], s[0:1], 0x28
	s_cmp_lg_u32 s16, 0
	s_cselect_b64 s[28:29], -1, 0
	s_mov_b32 s42, 0
	s_waitcnt lgkmcnt(0)
	s_cmp_gt_i32 s21, 0
	s_mul_i32 s2, s21, s20
	s_cselect_b64 s[30:31], -1, 0
	s_cmp_gt_i32 s20, 0
	v_mad_u64_u32 v[2:3], s[4:5], s2, v1, 0
	s_cselect_b64 s[34:35], -1, 0
	s_cmp_lg_u32 s13, 0
	s_mul_hi_i32 s3, s21, s20
	v_mov_b32_e32 v4, v3
	s_cselect_b64 s[36:37], -1, 0
	s_cmp_lg_u32 s14, 0
	v_mad_u64_u32 v[4:5], s[4:5], s3, v1, v[4:5]
	s_cselect_b64 s[38:39], -1, 0
	s_cmp_lg_u32 s15, 0
	v_mov_b32_e32 v3, v4
	v_cndmask_b32_e64 v4, 0, 1, s[34:35]
	s_mov_b32 s17, 0
	s_cselect_b64 s[14:15], -1, 0
	v_lshl_add_u64 v[2:3], v[2:3], 3, s[22:23]
	s_lshl_b64 s[40:41], s[2:3], 3
	s_mov_b64 s[22:23], 0
	v_mov_b32_e32 v5, 0
	v_cmp_ne_u32_e64 s[2:3], 1, v4
	s_mov_b32 s43, 0x7ff00000
	v_mov_b32_e32 v4, v1
                                        ; implicit-def: $sgpr44_sgpr45
                                        ; implicit-def: $sgpr46_sgpr47
                                        ; implicit-def: $sgpr48_sgpr49
	s_branch .LBB3_9
.LBB3_4:                                ;   in Loop: Header=BB3_9 Depth=1
	s_or_b64 exec, exec, s[60:61]
	s_orn2_b64 s[60:61], s[6:7], exec
	s_orn2_b64 s[4:5], s[4:5], exec
.LBB3_5:                                ;   in Loop: Header=BB3_9 Depth=1
	s_or_b64 exec, exec, s[58:59]
	s_orn2_b64 s[58:59], s[60:61], exec
	s_orn2_b64 s[6:7], s[4:5], exec
.LBB3_6:                                ;   in Loop: Header=BB3_9 Depth=1
	s_or_b64 exec, exec, s[56:57]
	s_orn2_b64 s[56:57], s[58:59], exec
	s_orn2_b64 s[4:5], s[6:7], exec
.LBB3_7:                                ;   in Loop: Header=BB3_9 Depth=1
	s_or_b64 exec, exec, s[52:53]
	s_andn2_b64 s[6:7], s[48:49], exec
	s_and_b64 s[48:49], s[56:57], exec
	s_or_b64 s[48:49], s[6:7], s[48:49]
	s_andn2_b64 s[6:7], s[46:47], exec
	s_and_b64 s[4:5], s[4:5], exec
	s_or_b64 s[46:47], s[6:7], s[4:5]
.LBB3_8:                                ;   in Loop: Header=BB3_9 Depth=1
	s_or_b64 exec, exec, s[50:51]
	s_and_b64 s[4:5], exec, s[46:47]
	s_or_b64 s[22:23], s[4:5], s[22:23]
	s_andn2_b64 s[4:5], s[44:45], exec
	s_and_b64 s[6:7], s[48:49], exec
	s_or_b64 s[44:45], s[4:5], s[6:7]
	s_andn2_b64 exec, exec, s[22:23]
	s_cbranch_execz .LBB3_56
.LBB3_9:                                ; =>This Loop Header: Depth=1
                                        ;     Child Loop BB3_33 Depth 2
                                        ;       Child Loop BB3_37 Depth 3
                                        ;     Child Loop BB3_17 Depth 2
                                        ;       Child Loop BB3_21 Depth 3
	v_lshl_add_u64 v[6:7], v[4:5], 2, s[8:9]
	global_load_dword v13, v[6:7], off
	v_mov_b32_e32 v15, 4
	s_or_b64 s[48:49], s[48:49], exec
	s_or_b64 s[46:47], s[46:47], exec
	s_waitcnt vmcnt(0)
	v_subrev_u32_e32 v14, s12, v13
	v_cmp_lt_i32_e32 vcc, -1, v14
	v_cmp_gt_i32_e64 s[4:5], s18, v14
	s_and_b64 s[4:5], vcc, s[4:5]
	s_and_saveexec_b64 s[50:51], s[4:5]
	s_cbranch_execz .LBB3_8
; %bb.10:                               ;   in Loop: Header=BB3_9 Depth=1
	v_cmp_le_i32_e64 s[54:55], v4, v1
	v_cmp_gt_i32_e32 vcc, v4, v1
	v_mov_b32_e32 v15, 4
	s_mov_b64 s[6:7], s[54:55]
	s_and_saveexec_b64 s[52:53], vcc
	s_cbranch_execz .LBB3_12
; %bb.11:                               ;   in Loop: Header=BB3_9 Depth=1
	v_lshl_add_u64 v[8:9], v[4:5], 2, s[10:11]
	global_load_dwordx2 v[8:9], v[8:9], off offset:-4
	v_mov_b32_e32 v15, 5
	s_waitcnt vmcnt(0)
	v_subrev_u32_e32 v10, s12, v8
	v_cmp_lt_i32_e64 s[4:5], -1, v10
	v_cmp_gt_i32_e64 s[6:7], s18, v10
	s_and_b64 s[4:5], s[4:5], s[6:7]
	v_cmp_ne_u32_e32 vcc, v9, v8
	s_xor_b64 s[4:5], s[4:5], -1
	s_or_b64 s[4:5], vcc, s[4:5]
	s_andn2_b64 s[6:7], s[54:55], exec
	s_and_b64 s[4:5], s[4:5], exec
	s_or_b64 s[6:7], s[6:7], s[4:5]
.LBB3_12:                               ;   in Loop: Header=BB3_9 Depth=1
	s_or_b64 exec, exec, s[52:53]
	s_mov_b64 s[4:5], -1
	s_mov_b64 s[56:57], -1
	s_and_saveexec_b64 s[52:53], s[6:7]
	s_cbranch_execz .LBB3_7
; %bb.13:                               ;   in Loop: Header=BB3_9 Depth=1
	s_and_b64 vcc, exec, s[28:29]
	s_cbranch_vccz .LBB3_29
; %bb.14:                               ;   in Loop: Header=BB3_9 Depth=1
	s_and_b64 vcc, exec, s[30:31]
	s_cbranch_vccz .LBB3_28
; %bb.15:                               ;   in Loop: Header=BB3_9 Depth=1
	s_mov_b32 s16, 0
	s_mov_b64 s[6:7], 0
	s_mov_b32 s13, s16
                                        ; implicit-def: $sgpr4_sgpr5
	s_branch .LBB3_17
.LBB3_16:                               ;   in Loop: Header=BB3_17 Depth=2
	s_or_b64 exec, exec, s[62:63]
	s_xor_b64 s[58:59], s[60:61], -1
	s_and_b64 s[56:57], exec, s[56:57]
	s_or_b64 s[6:7], s[56:57], s[6:7]
	s_andn2_b64 s[4:5], s[4:5], exec
	s_and_b64 s[56:57], s[58:59], exec
	s_or_b64 s[4:5], s[4:5], s[56:57]
	s_andn2_b64 exec, exec, s[6:7]
	s_cbranch_execz .LBB3_27
.LBB3_17:                               ;   Parent Loop BB3_9 Depth=1
                                        ; =>  This Loop Header: Depth=2
                                        ;       Child Loop BB3_21 Depth 3
	s_mov_b64 s[56:57], -1
	s_and_b64 vcc, exec, s[2:3]
	s_mov_b64 s[58:59], -1
                                        ; implicit-def: $vgpr15
	s_cbranch_vccnz .LBB3_25
; %bb.18:                               ;   in Loop: Header=BB3_17 Depth=2
	v_lshl_add_u64 v[8:9], s[16:17], 3, v[2:3]
	s_mov_b64 s[60:61], 0
	s_mov_b32 s19, s20
                                        ; implicit-def: $sgpr58_sgpr59
                                        ; implicit-def: $sgpr62_sgpr63
                                        ; implicit-def: $sgpr64_sgpr65
	s_branch .LBB3_21
.LBB3_19:                               ;   in Loop: Header=BB3_21 Depth=3
	s_or_b64 exec, exec, s[72:73]
	s_andn2_b64 s[64:65], s[64:65], exec
	s_and_b64 s[70:71], s[70:71], exec
	s_andn2_b64 s[62:63], s[62:63], exec
	s_and_b64 s[68:69], s[68:69], exec
	v_mov_b32_e32 v15, 2
	s_or_b64 s[64:65], s[64:65], s[70:71]
	s_or_b64 s[62:63], s[62:63], s[68:69]
.LBB3_20:                               ;   in Loop: Header=BB3_21 Depth=3
	s_or_b64 exec, exec, s[66:67]
	s_xor_b64 s[66:67], s[64:65], -1
	s_and_b64 s[68:69], exec, s[62:63]
	s_or_b64 s[60:61], s[68:69], s[60:61]
	s_andn2_b64 s[58:59], s[58:59], exec
	s_and_b64 s[66:67], s[66:67], exec
	s_or_b64 s[58:59], s[58:59], s[66:67]
	s_andn2_b64 exec, exec, s[60:61]
	s_cbranch_execz .LBB3_24
.LBB3_21:                               ;   Parent Loop BB3_9 Depth=1
                                        ;     Parent Loop BB3_17 Depth=2
                                        ; =>    This Inner Loop Header: Depth=3
	global_load_dwordx2 v[10:11], v[8:9], off
	v_mov_b32_e32 v15, 1
	s_or_b64 s[64:65], s[64:65], exec
	s_or_b64 s[62:63], s[62:63], exec
	s_waitcnt vmcnt(0)
	v_cmp_neq_f64_e32 vcc, s[42:43], v[10:11]
	s_and_saveexec_b64 s[66:67], vcc
	s_xor_b64 s[66:67], exec, s[66:67]
	s_cbranch_execz .LBB3_20
; %bb.22:                               ;   in Loop: Header=BB3_21 Depth=3
	v_cmp_o_f64_e32 vcc, v[10:11], v[10:11]
	s_mov_b64 s[68:69], -1
	s_mov_b64 s[70:71], -1
	s_and_saveexec_b64 s[72:73], vcc
	s_cbranch_execz .LBB3_19
; %bb.23:                               ;   in Loop: Header=BB3_21 Depth=3
	s_add_i32 s19, s19, -1
	s_cmp_eq_u32 s19, 0
	s_cselect_b64 s[68:69], -1, 0
	v_lshl_add_u64 v[8:9], v[8:9], 0, 8
	s_xor_b64 s[70:71], exec, -1
	s_orn2_b64 s[68:69], s[68:69], exec
	s_branch .LBB3_19
.LBB3_24:                               ;   in Loop: Header=BB3_17 Depth=2
	s_or_b64 exec, exec, s[60:61]
.LBB3_25:                               ;   in Loop: Header=BB3_17 Depth=2
	s_mov_b64 s[60:61], -1
	s_and_saveexec_b64 s[62:63], s[58:59]
	s_cbranch_execz .LBB3_16
; %bb.26:                               ;   in Loop: Header=BB3_17 Depth=2
	s_add_i32 s13, s13, 1
	s_add_i32 s16, s16, s20
	s_cmp_eq_u32 s13, s21
	s_cselect_b64 s[56:57], -1, 0
	s_xor_b64 s[60:61], exec, -1
	s_orn2_b64 s[56:57], s[56:57], exec
	s_branch .LBB3_16
.LBB3_27:                               ;   in Loop: Header=BB3_9 Depth=1
	s_or_b64 exec, exec, s[6:7]
.LBB3_28:                               ;   in Loop: Header=BB3_9 Depth=1
	s_branch .LBB3_44
.LBB3_29:                               ;   in Loop: Header=BB3_9 Depth=1
	s_mov_b64 s[4:5], 0
	s_cbranch_execz .LBB3_44
; %bb.30:                               ;   in Loop: Header=BB3_9 Depth=1
	s_and_b64 vcc, exec, s[34:35]
	s_cbranch_vccz .LBB3_54
; %bb.31:                               ;   in Loop: Header=BB3_9 Depth=1
	s_mov_b32 s16, 0
	s_mov_b64 s[6:7], 0
	s_mov_b32 s13, s16
                                        ; implicit-def: $sgpr4_sgpr5
	s_branch .LBB3_33
.LBB3_32:                               ;   in Loop: Header=BB3_33 Depth=2
	s_or_b64 exec, exec, s[62:63]
	s_xor_b64 s[58:59], s[60:61], -1
	s_and_b64 s[56:57], exec, s[56:57]
	s_or_b64 s[6:7], s[56:57], s[6:7]
	s_andn2_b64 s[4:5], s[4:5], exec
	s_and_b64 s[56:57], s[58:59], exec
	s_or_b64 s[4:5], s[4:5], s[56:57]
	s_andn2_b64 exec, exec, s[6:7]
	s_cbranch_execz .LBB3_43
.LBB3_33:                               ;   Parent Loop BB3_9 Depth=1
                                        ; =>  This Loop Header: Depth=2
                                        ;       Child Loop BB3_37 Depth 3
	s_mov_b64 s[56:57], -1
	s_andn2_b64 vcc, exec, s[30:31]
	s_mov_b64 s[58:59], -1
                                        ; implicit-def: $vgpr15
	s_cbranch_vccnz .LBB3_41
; %bb.34:                               ;   in Loop: Header=BB3_33 Depth=2
	v_lshl_add_u64 v[8:9], s[16:17], 3, v[2:3]
	s_mov_b64 s[60:61], 0
	s_mov_b32 s19, s21
                                        ; implicit-def: $sgpr58_sgpr59
                                        ; implicit-def: $sgpr62_sgpr63
                                        ; implicit-def: $sgpr64_sgpr65
	s_branch .LBB3_37
.LBB3_35:                               ;   in Loop: Header=BB3_37 Depth=3
	s_or_b64 exec, exec, s[72:73]
	s_andn2_b64 s[64:65], s[64:65], exec
	s_and_b64 s[70:71], s[70:71], exec
	s_andn2_b64 s[62:63], s[62:63], exec
	s_and_b64 s[68:69], s[68:69], exec
	v_mov_b32_e32 v15, 2
	s_or_b64 s[64:65], s[64:65], s[70:71]
	s_or_b64 s[62:63], s[62:63], s[68:69]
.LBB3_36:                               ;   in Loop: Header=BB3_37 Depth=3
	s_or_b64 exec, exec, s[66:67]
	s_xor_b64 s[66:67], s[64:65], -1
	s_and_b64 s[68:69], exec, s[62:63]
	s_or_b64 s[60:61], s[68:69], s[60:61]
	s_andn2_b64 s[58:59], s[58:59], exec
	s_and_b64 s[66:67], s[66:67], exec
	s_or_b64 s[58:59], s[58:59], s[66:67]
	s_andn2_b64 exec, exec, s[60:61]
	s_cbranch_execz .LBB3_40
.LBB3_37:                               ;   Parent Loop BB3_9 Depth=1
                                        ;     Parent Loop BB3_33 Depth=2
                                        ; =>    This Inner Loop Header: Depth=3
	global_load_dwordx2 v[10:11], v[8:9], off
	v_mov_b32_e32 v15, 1
	s_or_b64 s[64:65], s[64:65], exec
	s_or_b64 s[62:63], s[62:63], exec
	s_waitcnt vmcnt(0)
	v_cmp_neq_f64_e32 vcc, s[42:43], v[10:11]
	s_and_saveexec_b64 s[66:67], vcc
	s_xor_b64 s[66:67], exec, s[66:67]
	s_cbranch_execz .LBB3_36
; %bb.38:                               ;   in Loop: Header=BB3_37 Depth=3
	v_cmp_o_f64_e32 vcc, v[10:11], v[10:11]
	s_mov_b64 s[68:69], -1
	s_mov_b64 s[70:71], -1
	s_and_saveexec_b64 s[72:73], vcc
	s_cbranch_execz .LBB3_35
; %bb.39:                               ;   in Loop: Header=BB3_37 Depth=3
	s_add_i32 s19, s19, -1
	s_cmp_eq_u32 s19, 0
	s_cselect_b64 s[68:69], -1, 0
	v_lshl_add_u64 v[8:9], v[8:9], 0, 8
	s_xor_b64 s[70:71], exec, -1
	s_orn2_b64 s[68:69], s[68:69], exec
	s_branch .LBB3_35
.LBB3_40:                               ;   in Loop: Header=BB3_33 Depth=2
	s_or_b64 exec, exec, s[60:61]
.LBB3_41:                               ;   in Loop: Header=BB3_33 Depth=2
	s_mov_b64 s[60:61], -1
	s_and_saveexec_b64 s[62:63], s[58:59]
	s_cbranch_execz .LBB3_32
; %bb.42:                               ;   in Loop: Header=BB3_33 Depth=2
	s_add_i32 s13, s13, 1
	s_add_i32 s16, s16, s21
	s_cmp_eq_u32 s13, s20
	s_cselect_b64 s[56:57], -1, 0
	s_xor_b64 s[60:61], exec, -1
	s_orn2_b64 s[56:57], s[56:57], exec
	s_branch .LBB3_32
.LBB3_43:                               ;   in Loop: Header=BB3_9 Depth=1
	s_or_b64 exec, exec, s[6:7]
.LBB3_44:                               ;   in Loop: Header=BB3_9 Depth=1
	s_mov_b64 s[6:7], -1
	s_mov_b64 s[58:59], -1
	s_and_saveexec_b64 s[56:57], s[4:5]
	s_cbranch_execz .LBB3_6
.LBB3_45:                               ;   in Loop: Header=BB3_9 Depth=1
	s_mov_b64 s[4:5], -1
	s_and_b64 vcc, exec, s[36:37]
	s_cbranch_vccz .LBB3_49
; %bb.46:                               ;   in Loop: Header=BB3_9 Depth=1
	s_and_b64 vcc, exec, s[38:39]
	s_cbranch_vccz .LBB3_55
; %bb.47:                               ;   in Loop: Header=BB3_9 Depth=1
	v_cmp_le_i32_e32 vcc, v0, v14
	v_mov_b32_e32 v15, 7
	s_and_b64 s[6:7], vcc, exec
	s_cbranch_execnz .LBB3_49
.LBB3_48:                               ;   in Loop: Header=BB3_9 Depth=1
	v_cmp_ge_i32_e32 vcc, v0, v14
	s_andn2_b64 s[6:7], s[6:7], exec
	s_and_b64 s[58:59], vcc, exec
	v_mov_b32_e32 v15, 7
	s_or_b64 s[6:7], s[6:7], s[58:59]
.LBB3_49:                               ;   in Loop: Header=BB3_9 Depth=1
	s_mov_b64 s[60:61], -1
	s_and_saveexec_b64 s[58:59], s[6:7]
	s_cbranch_execz .LBB3_5
; %bb.50:                               ;   in Loop: Header=BB3_9 Depth=1
	s_or_b64 s[54:55], s[14:15], s[54:55]
	s_xor_b64 s[4:5], s[54:55], -1
	s_and_saveexec_b64 s[60:61], s[4:5]
	s_cbranch_execz .LBB3_52
; %bb.51:                               ;   in Loop: Header=BB3_9 Depth=1
	global_load_dword v6, v[6:7], off offset:-4
	v_mov_b32_e32 v15, 6
	s_waitcnt vmcnt(0)
	v_subrev_u32_e32 v7, s12, v6
	v_cmp_lt_i32_e64 s[4:5], -1, v7
	v_cmp_gt_i32_e64 s[6:7], s18, v7
	s_and_b64 s[4:5], s[4:5], s[6:7]
	v_cmp_gt_i32_e32 vcc, v13, v6
	s_xor_b64 s[4:5], s[4:5], -1
	s_or_b64 s[4:5], vcc, s[4:5]
	s_andn2_b64 s[6:7], s[54:55], exec
	s_and_b64 s[4:5], s[4:5], exec
	s_or_b64 s[54:55], s[6:7], s[4:5]
.LBB3_52:                               ;   in Loop: Header=BB3_9 Depth=1
	s_or_b64 exec, exec, s[60:61]
	s_mov_b64 s[4:5], -1
	s_mov_b64 s[6:7], -1
	s_and_saveexec_b64 s[60:61], s[54:55]
	s_cbranch_execz .LBB3_4
; %bb.53:                               ;   in Loop: Header=BB3_9 Depth=1
	v_add_u32_e32 v4, 1, v4
	v_cmp_ge_i32_e32 vcc, v4, v12
	v_lshl_add_u64 v[2:3], v[2:3], 0, s[40:41]
	s_xor_b64 s[6:7], exec, -1
	s_orn2_b64 s[4:5], vcc, exec
	s_branch .LBB3_4
.LBB3_54:                               ;   in Loop: Header=BB3_9 Depth=1
	s_mov_b64 s[4:5], -1
	s_mov_b64 s[6:7], -1
	;; [unrolled: 1-line block ×3, first 2 shown]
	s_and_saveexec_b64 s[56:57], s[4:5]
	s_cbranch_execz .LBB3_6
	s_branch .LBB3_45
.LBB3_55:                               ;   in Loop: Header=BB3_9 Depth=1
	s_mov_b64 s[6:7], 0
	s_andn2_b64 vcc, exec, s[58:59]
	s_cbranch_vccz .LBB3_48
	s_branch .LBB3_49
.LBB3_56:
	s_or_b64 exec, exec, s[22:23]
	s_and_b64 s[2:3], s[44:45], exec
.LBB3_57:
	s_or_b64 exec, exec, s[26:27]
	s_orn2_b64 s[6:7], s[2:3], exec
.LBB3_58:
	s_or_b64 exec, exec, s[24:25]
	s_and_b64 exec, exec, s[6:7]
	s_cbranch_execz .LBB3_60
; %bb.59:
	s_load_dwordx2 s[0:1], s[0:1], 0x48
	v_mov_b32_e32 v0, 0
	s_waitcnt lgkmcnt(0)
	global_store_dword v0, v15, s[0:1]
.LBB3_60:
	s_endpgm
	.section	.rodata,"a",@progbits
	.p2align	6, 0x0
	.amdhsa_kernel _ZN9rocsparseL25check_matrix_gebsr_deviceILj256EdiiEEv20rocsparse_direction_T2_S2_T1_S2_S2_PKT0_PKS3_PKS2_SA_21rocsparse_index_base_22rocsparse_matrix_type_20rocsparse_fill_mode_23rocsparse_storage_mode_P22rocsparse_data_status_
		.amdhsa_group_segment_fixed_size 0
		.amdhsa_private_segment_fixed_size 0
		.amdhsa_kernarg_size 80
		.amdhsa_user_sgpr_count 2
		.amdhsa_user_sgpr_dispatch_ptr 0
		.amdhsa_user_sgpr_queue_ptr 0
		.amdhsa_user_sgpr_kernarg_segment_ptr 1
		.amdhsa_user_sgpr_dispatch_id 0
		.amdhsa_user_sgpr_kernarg_preload_length 0
		.amdhsa_user_sgpr_kernarg_preload_offset 0
		.amdhsa_user_sgpr_private_segment_size 0
		.amdhsa_uses_dynamic_stack 0
		.amdhsa_enable_private_segment 0
		.amdhsa_system_sgpr_workgroup_id_x 1
		.amdhsa_system_sgpr_workgroup_id_y 0
		.amdhsa_system_sgpr_workgroup_id_z 0
		.amdhsa_system_sgpr_workgroup_info 0
		.amdhsa_system_vgpr_workitem_id 0
		.amdhsa_next_free_vgpr 16
		.amdhsa_next_free_sgpr 74
		.amdhsa_accum_offset 16
		.amdhsa_reserve_vcc 1
		.amdhsa_float_round_mode_32 0
		.amdhsa_float_round_mode_16_64 0
		.amdhsa_float_denorm_mode_32 3
		.amdhsa_float_denorm_mode_16_64 3
		.amdhsa_dx10_clamp 1
		.amdhsa_ieee_mode 1
		.amdhsa_fp16_overflow 0
		.amdhsa_tg_split 0
		.amdhsa_exception_fp_ieee_invalid_op 0
		.amdhsa_exception_fp_denorm_src 0
		.amdhsa_exception_fp_ieee_div_zero 0
		.amdhsa_exception_fp_ieee_overflow 0
		.amdhsa_exception_fp_ieee_underflow 0
		.amdhsa_exception_fp_ieee_inexact 0
		.amdhsa_exception_int_div_zero 0
	.end_amdhsa_kernel
	.section	.text._ZN9rocsparseL25check_matrix_gebsr_deviceILj256EdiiEEv20rocsparse_direction_T2_S2_T1_S2_S2_PKT0_PKS3_PKS2_SA_21rocsparse_index_base_22rocsparse_matrix_type_20rocsparse_fill_mode_23rocsparse_storage_mode_P22rocsparse_data_status_,"axG",@progbits,_ZN9rocsparseL25check_matrix_gebsr_deviceILj256EdiiEEv20rocsparse_direction_T2_S2_T1_S2_S2_PKT0_PKS3_PKS2_SA_21rocsparse_index_base_22rocsparse_matrix_type_20rocsparse_fill_mode_23rocsparse_storage_mode_P22rocsparse_data_status_,comdat
.Lfunc_end3:
	.size	_ZN9rocsparseL25check_matrix_gebsr_deviceILj256EdiiEEv20rocsparse_direction_T2_S2_T1_S2_S2_PKT0_PKS3_PKS2_SA_21rocsparse_index_base_22rocsparse_matrix_type_20rocsparse_fill_mode_23rocsparse_storage_mode_P22rocsparse_data_status_, .Lfunc_end3-_ZN9rocsparseL25check_matrix_gebsr_deviceILj256EdiiEEv20rocsparse_direction_T2_S2_T1_S2_S2_PKT0_PKS3_PKS2_SA_21rocsparse_index_base_22rocsparse_matrix_type_20rocsparse_fill_mode_23rocsparse_storage_mode_P22rocsparse_data_status_
                                        ; -- End function
	.set _ZN9rocsparseL25check_matrix_gebsr_deviceILj256EdiiEEv20rocsparse_direction_T2_S2_T1_S2_S2_PKT0_PKS3_PKS2_SA_21rocsparse_index_base_22rocsparse_matrix_type_20rocsparse_fill_mode_23rocsparse_storage_mode_P22rocsparse_data_status_.num_vgpr, 16
	.set _ZN9rocsparseL25check_matrix_gebsr_deviceILj256EdiiEEv20rocsparse_direction_T2_S2_T1_S2_S2_PKT0_PKS3_PKS2_SA_21rocsparse_index_base_22rocsparse_matrix_type_20rocsparse_fill_mode_23rocsparse_storage_mode_P22rocsparse_data_status_.num_agpr, 0
	.set _ZN9rocsparseL25check_matrix_gebsr_deviceILj256EdiiEEv20rocsparse_direction_T2_S2_T1_S2_S2_PKT0_PKS3_PKS2_SA_21rocsparse_index_base_22rocsparse_matrix_type_20rocsparse_fill_mode_23rocsparse_storage_mode_P22rocsparse_data_status_.numbered_sgpr, 74
	.set _ZN9rocsparseL25check_matrix_gebsr_deviceILj256EdiiEEv20rocsparse_direction_T2_S2_T1_S2_S2_PKT0_PKS3_PKS2_SA_21rocsparse_index_base_22rocsparse_matrix_type_20rocsparse_fill_mode_23rocsparse_storage_mode_P22rocsparse_data_status_.num_named_barrier, 0
	.set _ZN9rocsparseL25check_matrix_gebsr_deviceILj256EdiiEEv20rocsparse_direction_T2_S2_T1_S2_S2_PKT0_PKS3_PKS2_SA_21rocsparse_index_base_22rocsparse_matrix_type_20rocsparse_fill_mode_23rocsparse_storage_mode_P22rocsparse_data_status_.private_seg_size, 0
	.set _ZN9rocsparseL25check_matrix_gebsr_deviceILj256EdiiEEv20rocsparse_direction_T2_S2_T1_S2_S2_PKT0_PKS3_PKS2_SA_21rocsparse_index_base_22rocsparse_matrix_type_20rocsparse_fill_mode_23rocsparse_storage_mode_P22rocsparse_data_status_.uses_vcc, 1
	.set _ZN9rocsparseL25check_matrix_gebsr_deviceILj256EdiiEEv20rocsparse_direction_T2_S2_T1_S2_S2_PKT0_PKS3_PKS2_SA_21rocsparse_index_base_22rocsparse_matrix_type_20rocsparse_fill_mode_23rocsparse_storage_mode_P22rocsparse_data_status_.uses_flat_scratch, 0
	.set _ZN9rocsparseL25check_matrix_gebsr_deviceILj256EdiiEEv20rocsparse_direction_T2_S2_T1_S2_S2_PKT0_PKS3_PKS2_SA_21rocsparse_index_base_22rocsparse_matrix_type_20rocsparse_fill_mode_23rocsparse_storage_mode_P22rocsparse_data_status_.has_dyn_sized_stack, 0
	.set _ZN9rocsparseL25check_matrix_gebsr_deviceILj256EdiiEEv20rocsparse_direction_T2_S2_T1_S2_S2_PKT0_PKS3_PKS2_SA_21rocsparse_index_base_22rocsparse_matrix_type_20rocsparse_fill_mode_23rocsparse_storage_mode_P22rocsparse_data_status_.has_recursion, 0
	.set _ZN9rocsparseL25check_matrix_gebsr_deviceILj256EdiiEEv20rocsparse_direction_T2_S2_T1_S2_S2_PKT0_PKS3_PKS2_SA_21rocsparse_index_base_22rocsparse_matrix_type_20rocsparse_fill_mode_23rocsparse_storage_mode_P22rocsparse_data_status_.has_indirect_call, 0
	.section	.AMDGPU.csdata,"",@progbits
; Kernel info:
; codeLenInByte = 1524
; TotalNumSgprs: 80
; NumVgprs: 16
; NumAgprs: 0
; TotalNumVgprs: 16
; ScratchSize: 0
; MemoryBound: 0
; FloatMode: 240
; IeeeMode: 1
; LDSByteSize: 0 bytes/workgroup (compile time only)
; SGPRBlocks: 9
; VGPRBlocks: 1
; NumSGPRsForWavesPerEU: 80
; NumVGPRsForWavesPerEU: 16
; AccumOffset: 16
; Occupancy: 8
; WaveLimiterHint : 0
; COMPUTE_PGM_RSRC2:SCRATCH_EN: 0
; COMPUTE_PGM_RSRC2:USER_SGPR: 2
; COMPUTE_PGM_RSRC2:TRAP_HANDLER: 0
; COMPUTE_PGM_RSRC2:TGID_X_EN: 1
; COMPUTE_PGM_RSRC2:TGID_Y_EN: 0
; COMPUTE_PGM_RSRC2:TGID_Z_EN: 0
; COMPUTE_PGM_RSRC2:TIDIG_COMP_CNT: 0
; COMPUTE_PGM_RSRC3_GFX90A:ACCUM_OFFSET: 3
; COMPUTE_PGM_RSRC3_GFX90A:TG_SPLIT: 0
	.section	.text._ZN9rocsparseL25check_matrix_gebsr_deviceILj256E21rocsparse_complex_numIfEiiEEv20rocsparse_direction_T2_S4_T1_S4_S4_PKT0_PKS5_PKS4_SC_21rocsparse_index_base_22rocsparse_matrix_type_20rocsparse_fill_mode_23rocsparse_storage_mode_P22rocsparse_data_status_,"axG",@progbits,_ZN9rocsparseL25check_matrix_gebsr_deviceILj256E21rocsparse_complex_numIfEiiEEv20rocsparse_direction_T2_S4_T1_S4_S4_PKT0_PKS5_PKS4_SC_21rocsparse_index_base_22rocsparse_matrix_type_20rocsparse_fill_mode_23rocsparse_storage_mode_P22rocsparse_data_status_,comdat
	.globl	_ZN9rocsparseL25check_matrix_gebsr_deviceILj256E21rocsparse_complex_numIfEiiEEv20rocsparse_direction_T2_S4_T1_S4_S4_PKT0_PKS5_PKS4_SC_21rocsparse_index_base_22rocsparse_matrix_type_20rocsparse_fill_mode_23rocsparse_storage_mode_P22rocsparse_data_status_ ; -- Begin function _ZN9rocsparseL25check_matrix_gebsr_deviceILj256E21rocsparse_complex_numIfEiiEEv20rocsparse_direction_T2_S4_T1_S4_S4_PKT0_PKS5_PKS4_SC_21rocsparse_index_base_22rocsparse_matrix_type_20rocsparse_fill_mode_23rocsparse_storage_mode_P22rocsparse_data_status_
	.p2align	8
	.type	_ZN9rocsparseL25check_matrix_gebsr_deviceILj256E21rocsparse_complex_numIfEiiEEv20rocsparse_direction_T2_S4_T1_S4_S4_PKT0_PKS5_PKS4_SC_21rocsparse_index_base_22rocsparse_matrix_type_20rocsparse_fill_mode_23rocsparse_storage_mode_P22rocsparse_data_status_,@function
_ZN9rocsparseL25check_matrix_gebsr_deviceILj256E21rocsparse_complex_numIfEiiEEv20rocsparse_direction_T2_S4_T1_S4_S4_PKT0_PKS5_PKS4_SC_21rocsparse_index_base_22rocsparse_matrix_type_20rocsparse_fill_mode_23rocsparse_storage_mode_P22rocsparse_data_status_: ; @_ZN9rocsparseL25check_matrix_gebsr_deviceILj256E21rocsparse_complex_numIfEiiEEv20rocsparse_direction_T2_S4_T1_S4_S4_PKT0_PKS5_PKS4_SC_21rocsparse_index_base_22rocsparse_matrix_type_20rocsparse_fill_mode_23rocsparse_storage_mode_P22rocsparse_data_status_
; %bb.0:
	s_load_dwordx4 s[16:19], s[0:1], 0x0
	v_lshl_or_b32 v0, s2, 8, v0
	s_waitcnt lgkmcnt(0)
	v_cmp_gt_i32_e32 vcc, s17, v0
	s_and_saveexec_b64 s[2:3], vcc
	s_cbranch_execz .LBB4_61
; %bb.1:
	s_load_dwordx2 s[2:3], s[0:1], 0x20
	v_ashrrev_i32_e32 v1, 31, v0
	s_mov_b64 s[6:7], -1
	v_mov_b32_e32 v13, 3
	s_waitcnt lgkmcnt(0)
	v_lshl_add_u64 v[2:3], v[0:1], 2, s[2:3]
	global_load_dwordx2 v[2:3], v[2:3], off
	s_load_dword s2, s[2:3], 0x0
	s_waitcnt vmcnt(0) lgkmcnt(0)
	v_subrev_u32_e32 v10, s2, v3
	v_cmp_lt_i32_e32 vcc, v3, v2
	v_cmp_gt_i32_e64 s[4:5], 0, v10
	v_subrev_u32_e32 v1, s2, v2
	s_or_b64 s[4:5], s[4:5], vcc
	v_cmp_lt_i32_e64 s[2:3], -1, v1
	s_xor_b64 s[4:5], s[4:5], -1
	s_and_b64 s[2:3], s[2:3], s[4:5]
	s_and_saveexec_b64 s[24:25], s[2:3]
	s_cbranch_execz .LBB4_59
; %bb.2:
	v_cmp_lt_i32_e32 vcc, v2, v3
	s_mov_b64 s[2:3], 0
	v_mov_b32_e32 v13, 3
	s_and_saveexec_b64 s[26:27], vcc
	s_cbranch_execz .LBB4_58
; %bb.3:
	s_load_dwordx4 s[20:23], s[0:1], 0x10
	s_load_dwordx8 s[8:15], s[0:1], 0x28
	s_cmp_lg_u32 s16, 0
	s_cselect_b64 s[28:29], -1, 0
	s_mov_b32 s17, 0
	s_waitcnt lgkmcnt(0)
	s_cmp_gt_i32 s21, 0
	s_mul_i32 s2, s21, s20
	s_cselect_b64 s[30:31], -1, 0
	s_cmp_gt_i32 s20, 0
	v_mad_u64_u32 v[2:3], s[4:5], s2, v1, 0
	s_cselect_b64 s[34:35], -1, 0
	s_cmp_lg_u32 s13, 0
	s_mul_hi_i32 s3, s21, s20
	v_mov_b32_e32 v4, v3
	s_cselect_b64 s[36:37], -1, 0
	s_cmp_lg_u32 s14, 0
	v_mad_u64_u32 v[4:5], s[4:5], s3, v1, v[4:5]
	s_cselect_b64 s[38:39], -1, 0
	s_cmp_lg_u32 s15, 0
	v_mov_b32_e32 v3, v4
	v_cndmask_b32_e64 v4, 0, 1, s[34:35]
	s_cselect_b64 s[14:15], -1, 0
	v_lshl_add_u64 v[2:3], v[2:3], 3, s[22:23]
	s_lshl_b64 s[40:41], s[2:3], 3
	s_mov_b64 s[22:23], 0
	v_mov_b32_e32 v5, 0
	v_cmp_ne_u32_e64 s[2:3], 1, v4
	s_mov_b32 s13, 0x7f800000
	v_mov_b32_e32 v4, v1
                                        ; implicit-def: $sgpr42_sgpr43
                                        ; implicit-def: $sgpr44_sgpr45
                                        ; implicit-def: $sgpr46_sgpr47
	s_branch .LBB4_9
.LBB4_4:                                ;   in Loop: Header=BB4_9 Depth=1
	s_or_b64 exec, exec, s[58:59]
	s_orn2_b64 s[58:59], s[6:7], exec
	s_orn2_b64 s[4:5], s[4:5], exec
.LBB4_5:                                ;   in Loop: Header=BB4_9 Depth=1
	s_or_b64 exec, exec, s[56:57]
	s_orn2_b64 s[56:57], s[58:59], exec
	s_orn2_b64 s[4:5], s[4:5], exec
.LBB4_6:                                ;   in Loop: Header=BB4_9 Depth=1
	s_or_b64 exec, exec, s[54:55]
	s_orn2_b64 s[6:7], s[56:57], exec
	s_orn2_b64 s[4:5], s[4:5], exec
.LBB4_7:                                ;   in Loop: Header=BB4_9 Depth=1
	s_or_b64 exec, exec, s[50:51]
	s_andn2_b64 s[46:47], s[46:47], exec
	s_and_b64 s[6:7], s[6:7], exec
	s_or_b64 s[46:47], s[46:47], s[6:7]
	s_andn2_b64 s[6:7], s[44:45], exec
	s_and_b64 s[4:5], s[4:5], exec
	s_or_b64 s[44:45], s[6:7], s[4:5]
.LBB4_8:                                ;   in Loop: Header=BB4_9 Depth=1
	s_or_b64 exec, exec, s[48:49]
	s_and_b64 s[4:5], exec, s[44:45]
	s_or_b64 s[22:23], s[4:5], s[22:23]
	s_andn2_b64 s[4:5], s[42:43], exec
	s_and_b64 s[6:7], s[46:47], exec
	s_or_b64 s[42:43], s[4:5], s[6:7]
	s_andn2_b64 exec, exec, s[22:23]
	s_cbranch_execz .LBB4_57
.LBB4_9:                                ; =>This Loop Header: Depth=1
                                        ;     Child Loop BB4_33 Depth 2
                                        ;       Child Loop BB4_37 Depth 3
                                        ;     Child Loop BB4_17 Depth 2
                                        ;       Child Loop BB4_21 Depth 3
	v_lshl_add_u64 v[6:7], v[4:5], 2, s[8:9]
	global_load_dword v11, v[6:7], off
	v_mov_b32_e32 v13, 4
	s_or_b64 s[46:47], s[46:47], exec
	s_or_b64 s[44:45], s[44:45], exec
	s_waitcnt vmcnt(0)
	v_subrev_u32_e32 v12, s12, v11
	v_cmp_lt_i32_e32 vcc, -1, v12
	v_cmp_gt_i32_e64 s[4:5], s18, v12
	s_and_b64 s[4:5], vcc, s[4:5]
	s_and_saveexec_b64 s[48:49], s[4:5]
	s_cbranch_execz .LBB4_8
; %bb.10:                               ;   in Loop: Header=BB4_9 Depth=1
	v_cmp_le_i32_e64 s[52:53], v4, v1
	v_cmp_gt_i32_e32 vcc, v4, v1
	v_mov_b32_e32 v13, 4
	s_mov_b64 s[54:55], s[52:53]
	s_and_saveexec_b64 s[50:51], vcc
	s_cbranch_execz .LBB4_12
; %bb.11:                               ;   in Loop: Header=BB4_9 Depth=1
	v_lshl_add_u64 v[8:9], v[4:5], 2, s[10:11]
	global_load_dwordx2 v[8:9], v[8:9], off offset:-4
	v_mov_b32_e32 v13, 5
	s_waitcnt vmcnt(0)
	v_subrev_u32_e32 v14, s12, v8
	v_cmp_lt_i32_e64 s[4:5], -1, v14
	v_cmp_gt_i32_e64 s[6:7], s18, v14
	s_and_b64 s[4:5], s[4:5], s[6:7]
	v_cmp_ne_u32_e32 vcc, v9, v8
	s_xor_b64 s[4:5], s[4:5], -1
	s_or_b64 s[4:5], vcc, s[4:5]
	s_andn2_b64 s[6:7], s[52:53], exec
	s_and_b64 s[4:5], s[4:5], exec
	s_or_b64 s[54:55], s[6:7], s[4:5]
.LBB4_12:                               ;   in Loop: Header=BB4_9 Depth=1
	s_or_b64 exec, exec, s[50:51]
	s_mov_b64 s[4:5], -1
	s_mov_b64 s[6:7], -1
	s_and_saveexec_b64 s[50:51], s[54:55]
	s_cbranch_execz .LBB4_7
; %bb.13:                               ;   in Loop: Header=BB4_9 Depth=1
	s_and_b64 vcc, exec, s[28:29]
	s_cbranch_vccz .LBB4_29
; %bb.14:                               ;   in Loop: Header=BB4_9 Depth=1
	s_and_b64 vcc, exec, s[30:31]
	s_cbranch_vccz .LBB4_28
; %bb.15:                               ;   in Loop: Header=BB4_9 Depth=1
	s_mov_b32 s16, 0
	s_mov_b64 s[54:55], 0
	s_mov_b32 s19, s16
                                        ; implicit-def: $sgpr6_sgpr7
	s_branch .LBB4_17
.LBB4_16:                               ;   in Loop: Header=BB4_17 Depth=2
	s_or_b64 exec, exec, s[60:61]
	s_xor_b64 s[4:5], s[4:5], -1
	s_and_b64 s[56:57], exec, s[56:57]
	s_or_b64 s[54:55], s[56:57], s[54:55]
	s_andn2_b64 s[6:7], s[6:7], exec
	s_and_b64 s[4:5], s[4:5], exec
	s_or_b64 s[6:7], s[6:7], s[4:5]
	s_andn2_b64 exec, exec, s[54:55]
	s_cbranch_execz .LBB4_27
.LBB4_17:                               ;   Parent Loop BB4_9 Depth=1
                                        ; =>  This Loop Header: Depth=2
                                        ;       Child Loop BB4_21 Depth 3
	s_mov_b64 s[56:57], -1
	s_and_b64 vcc, exec, s[2:3]
	s_mov_b64 s[58:59], -1
                                        ; implicit-def: $vgpr13
	s_cbranch_vccnz .LBB4_25
; %bb.18:                               ;   in Loop: Header=BB4_17 Depth=2
	s_lshl_b64 s[62:63], s[16:17], 3
	s_mov_b64 s[60:61], 0
	s_mov_b32 s33, s20
                                        ; implicit-def: $sgpr58_sgpr59
                                        ; implicit-def: $sgpr64_sgpr65
                                        ; implicit-def: $sgpr66_sgpr67
	s_branch .LBB4_21
.LBB4_19:                               ;   in Loop: Header=BB4_21 Depth=3
	s_or_b64 exec, exec, s[72:73]
	s_andn2_b64 s[66:67], s[66:67], exec
	s_and_b64 s[70:71], s[70:71], exec
	s_andn2_b64 s[64:65], s[64:65], exec
	s_and_b64 s[68:69], s[68:69], exec
	v_mov_b32_e32 v13, 2
	s_or_b64 s[66:67], s[66:67], s[70:71]
	s_or_b64 s[64:65], s[64:65], s[68:69]
.LBB4_20:                               ;   in Loop: Header=BB4_21 Depth=3
	s_or_b64 exec, exec, s[4:5]
	s_xor_b64 s[4:5], s[66:67], -1
	s_and_b64 s[68:69], exec, s[64:65]
	s_or_b64 s[60:61], s[68:69], s[60:61]
	s_andn2_b64 s[58:59], s[58:59], exec
	s_and_b64 s[4:5], s[4:5], exec
	s_or_b64 s[58:59], s[58:59], s[4:5]
	s_andn2_b64 exec, exec, s[60:61]
	s_cbranch_execz .LBB4_24
.LBB4_21:                               ;   Parent Loop BB4_9 Depth=1
                                        ;     Parent Loop BB4_17 Depth=2
                                        ; =>    This Inner Loop Header: Depth=3
	v_lshl_add_u64 v[8:9], v[2:3], 0, s[62:63]
	global_load_dwordx2 v[8:9], v[8:9], off
	v_mov_b32_e32 v13, 1
	s_or_b64 s[66:67], s[66:67], exec
	s_or_b64 s[64:65], s[64:65], exec
	s_waitcnt vmcnt(0)
	v_cmp_neq_f32_e32 vcc, s13, v8
	v_cmp_neq_f32_e64 s[4:5], s13, v9
	s_and_b64 s[4:5], vcc, s[4:5]
	s_and_saveexec_b64 s[68:69], s[4:5]
	s_xor_b64 s[4:5], exec, s[68:69]
	s_cbranch_execz .LBB4_20
; %bb.22:                               ;   in Loop: Header=BB4_21 Depth=3
	v_cmp_o_f32_e32 vcc, v8, v9
	s_mov_b64 s[68:69], -1
	s_mov_b64 s[70:71], -1
	s_and_saveexec_b64 s[72:73], vcc
	s_cbranch_execz .LBB4_19
; %bb.23:                               ;   in Loop: Header=BB4_21 Depth=3
	s_add_i32 s33, s33, -1
	s_add_u32 s62, s62, 8
	s_addc_u32 s63, s63, 0
	s_cmp_eq_u32 s33, 0
	s_cselect_b64 s[68:69], -1, 0
	s_xor_b64 s[70:71], exec, -1
	s_orn2_b64 s[68:69], s[68:69], exec
	s_branch .LBB4_19
.LBB4_24:                               ;   in Loop: Header=BB4_17 Depth=2
	s_or_b64 exec, exec, s[60:61]
.LBB4_25:                               ;   in Loop: Header=BB4_17 Depth=2
	s_mov_b64 s[4:5], -1
	s_and_saveexec_b64 s[60:61], s[58:59]
	s_cbranch_execz .LBB4_16
; %bb.26:                               ;   in Loop: Header=BB4_17 Depth=2
	s_add_i32 s19, s19, 1
	s_add_i32 s16, s16, s20
	s_cmp_eq_u32 s19, s21
	s_cselect_b64 s[56:57], -1, 0
	s_xor_b64 s[4:5], exec, -1
	s_orn2_b64 s[56:57], s[56:57], exec
	s_branch .LBB4_16
.LBB4_27:                               ;   in Loop: Header=BB4_9 Depth=1
	s_or_b64 exec, exec, s[54:55]
.LBB4_28:                               ;   in Loop: Header=BB4_9 Depth=1
	s_branch .LBB4_44
.LBB4_29:                               ;   in Loop: Header=BB4_9 Depth=1
	s_mov_b64 s[6:7], 0
	s_and_b64 vcc, exec, s[4:5]
	s_cbranch_vccz .LBB4_44
; %bb.30:                               ;   in Loop: Header=BB4_9 Depth=1
	s_and_b64 vcc, exec, s[34:35]
	s_cbranch_vccz .LBB4_48
; %bb.31:                               ;   in Loop: Header=BB4_9 Depth=1
	s_mov_b32 s16, 0
	s_mov_b64 s[54:55], 0
	s_mov_b32 s19, s16
                                        ; implicit-def: $sgpr6_sgpr7
	s_branch .LBB4_33
.LBB4_32:                               ;   in Loop: Header=BB4_33 Depth=2
	s_or_b64 exec, exec, s[60:61]
	s_xor_b64 s[4:5], s[4:5], -1
	s_and_b64 s[56:57], exec, s[56:57]
	s_or_b64 s[54:55], s[56:57], s[54:55]
	s_andn2_b64 s[6:7], s[6:7], exec
	s_and_b64 s[4:5], s[4:5], exec
	s_or_b64 s[6:7], s[6:7], s[4:5]
	s_andn2_b64 exec, exec, s[54:55]
	s_cbranch_execz .LBB4_43
.LBB4_33:                               ;   Parent Loop BB4_9 Depth=1
                                        ; =>  This Loop Header: Depth=2
                                        ;       Child Loop BB4_37 Depth 3
	s_mov_b64 s[56:57], -1
	s_andn2_b64 vcc, exec, s[30:31]
	s_mov_b64 s[58:59], -1
                                        ; implicit-def: $vgpr13
	s_cbranch_vccnz .LBB4_41
; %bb.34:                               ;   in Loop: Header=BB4_33 Depth=2
	s_lshl_b64 s[62:63], s[16:17], 3
	s_mov_b64 s[60:61], 0
	s_mov_b32 s33, s21
                                        ; implicit-def: $sgpr58_sgpr59
                                        ; implicit-def: $sgpr64_sgpr65
                                        ; implicit-def: $sgpr66_sgpr67
	s_branch .LBB4_37
.LBB4_35:                               ;   in Loop: Header=BB4_37 Depth=3
	s_or_b64 exec, exec, s[72:73]
	s_andn2_b64 s[66:67], s[66:67], exec
	s_and_b64 s[70:71], s[70:71], exec
	s_andn2_b64 s[64:65], s[64:65], exec
	s_and_b64 s[68:69], s[68:69], exec
	v_mov_b32_e32 v13, 2
	s_or_b64 s[66:67], s[66:67], s[70:71]
	s_or_b64 s[64:65], s[64:65], s[68:69]
.LBB4_36:                               ;   in Loop: Header=BB4_37 Depth=3
	s_or_b64 exec, exec, s[4:5]
	s_xor_b64 s[4:5], s[66:67], -1
	s_and_b64 s[68:69], exec, s[64:65]
	s_or_b64 s[60:61], s[68:69], s[60:61]
	s_andn2_b64 s[58:59], s[58:59], exec
	s_and_b64 s[4:5], s[4:5], exec
	s_or_b64 s[58:59], s[58:59], s[4:5]
	s_andn2_b64 exec, exec, s[60:61]
	s_cbranch_execz .LBB4_40
.LBB4_37:                               ;   Parent Loop BB4_9 Depth=1
                                        ;     Parent Loop BB4_33 Depth=2
                                        ; =>    This Inner Loop Header: Depth=3
	v_lshl_add_u64 v[8:9], v[2:3], 0, s[62:63]
	global_load_dwordx2 v[8:9], v[8:9], off
	v_mov_b32_e32 v13, 1
	s_or_b64 s[66:67], s[66:67], exec
	s_or_b64 s[64:65], s[64:65], exec
	s_waitcnt vmcnt(0)
	v_cmp_neq_f32_e32 vcc, s13, v8
	v_cmp_neq_f32_e64 s[4:5], s13, v9
	s_and_b64 s[4:5], vcc, s[4:5]
	s_and_saveexec_b64 s[68:69], s[4:5]
	s_xor_b64 s[4:5], exec, s[68:69]
	s_cbranch_execz .LBB4_36
; %bb.38:                               ;   in Loop: Header=BB4_37 Depth=3
	v_cmp_o_f32_e32 vcc, v8, v9
	s_mov_b64 s[68:69], -1
	s_mov_b64 s[70:71], -1
	s_and_saveexec_b64 s[72:73], vcc
	s_cbranch_execz .LBB4_35
; %bb.39:                               ;   in Loop: Header=BB4_37 Depth=3
	s_add_i32 s33, s33, -1
	s_add_u32 s62, s62, 8
	s_addc_u32 s63, s63, 0
	s_cmp_eq_u32 s33, 0
	s_cselect_b64 s[68:69], -1, 0
	s_xor_b64 s[70:71], exec, -1
	s_orn2_b64 s[68:69], s[68:69], exec
	s_branch .LBB4_35
.LBB4_40:                               ;   in Loop: Header=BB4_33 Depth=2
	s_or_b64 exec, exec, s[60:61]
.LBB4_41:                               ;   in Loop: Header=BB4_33 Depth=2
	s_mov_b64 s[4:5], -1
	s_and_saveexec_b64 s[60:61], s[58:59]
	s_cbranch_execz .LBB4_32
; %bb.42:                               ;   in Loop: Header=BB4_33 Depth=2
	s_add_i32 s19, s19, 1
	s_add_i32 s16, s16, s21
	s_cmp_eq_u32 s19, s20
	s_cselect_b64 s[56:57], -1, 0
	s_xor_b64 s[4:5], exec, -1
	s_orn2_b64 s[56:57], s[56:57], exec
	s_branch .LBB4_32
.LBB4_43:                               ;   in Loop: Header=BB4_9 Depth=1
	s_or_b64 exec, exec, s[54:55]
.LBB4_44:                               ;   in Loop: Header=BB4_9 Depth=1
	s_mov_b64 s[4:5], -1
	s_mov_b64 s[56:57], -1
	s_and_saveexec_b64 s[54:55], s[6:7]
	s_cbranch_execz .LBB4_6
.LBB4_45:                               ;   in Loop: Header=BB4_9 Depth=1
	s_and_b64 vcc, exec, s[36:37]
	s_cbranch_vccz .LBB4_49
; %bb.46:                               ;   in Loop: Header=BB4_9 Depth=1
	s_and_b64 vcc, exec, s[38:39]
	s_cbranch_vccz .LBB4_50
; %bb.47:                               ;   in Loop: Header=BB4_9 Depth=1
	v_cmp_le_i32_e32 vcc, v0, v12
	v_mov_b32_e32 v13, 7
	s_and_b64 s[6:7], vcc, exec
	s_cbranch_execz .LBB4_51
	s_branch .LBB4_52
.LBB4_48:                               ;   in Loop: Header=BB4_9 Depth=1
	s_mov_b64 s[6:7], -1
	s_mov_b64 s[4:5], -1
	;; [unrolled: 1-line block ×3, first 2 shown]
	s_and_saveexec_b64 s[54:55], s[6:7]
	s_cbranch_execz .LBB4_6
	s_branch .LBB4_45
.LBB4_49:                               ;   in Loop: Header=BB4_9 Depth=1
	s_mov_b64 s[6:7], -1
	s_branch .LBB4_52
.LBB4_50:                               ;   in Loop: Header=BB4_9 Depth=1
	s_mov_b64 s[6:7], 0
	s_andn2_b64 vcc, exec, s[56:57]
	s_cbranch_vccnz .LBB4_52
.LBB4_51:                               ;   in Loop: Header=BB4_9 Depth=1
	v_cmp_ge_i32_e32 vcc, v0, v12
	s_andn2_b64 s[6:7], s[6:7], exec
	s_and_b64 s[56:57], vcc, exec
	v_mov_b32_e32 v13, 7
	s_or_b64 s[6:7], s[6:7], s[56:57]
.LBB4_52:                               ;   in Loop: Header=BB4_9 Depth=1
	s_mov_b64 s[58:59], -1
	s_and_saveexec_b64 s[56:57], s[6:7]
	s_cbranch_execz .LBB4_5
; %bb.53:                               ;   in Loop: Header=BB4_9 Depth=1
	s_or_b64 s[52:53], s[14:15], s[52:53]
	s_xor_b64 s[4:5], s[52:53], -1
	s_and_saveexec_b64 s[58:59], s[4:5]
	s_cbranch_execz .LBB4_55
; %bb.54:                               ;   in Loop: Header=BB4_9 Depth=1
	global_load_dword v6, v[6:7], off offset:-4
	v_mov_b32_e32 v13, 6
	s_waitcnt vmcnt(0)
	v_subrev_u32_e32 v7, s12, v6
	v_cmp_lt_i32_e64 s[4:5], -1, v7
	v_cmp_gt_i32_e64 s[6:7], s18, v7
	s_and_b64 s[4:5], s[4:5], s[6:7]
	v_cmp_gt_i32_e32 vcc, v11, v6
	s_xor_b64 s[4:5], s[4:5], -1
	s_or_b64 s[4:5], vcc, s[4:5]
	s_andn2_b64 s[6:7], s[52:53], exec
	s_and_b64 s[4:5], s[4:5], exec
	s_or_b64 s[52:53], s[6:7], s[4:5]
.LBB4_55:                               ;   in Loop: Header=BB4_9 Depth=1
	s_or_b64 exec, exec, s[58:59]
	s_mov_b64 s[4:5], -1
	s_mov_b64 s[6:7], -1
	s_and_saveexec_b64 s[58:59], s[52:53]
	s_cbranch_execz .LBB4_4
; %bb.56:                               ;   in Loop: Header=BB4_9 Depth=1
	v_add_u32_e32 v4, 1, v4
	v_cmp_ge_i32_e32 vcc, v4, v10
	v_lshl_add_u64 v[2:3], v[2:3], 0, s[40:41]
	s_xor_b64 s[6:7], exec, -1
	s_orn2_b64 s[4:5], vcc, exec
	s_branch .LBB4_4
.LBB4_57:
	s_or_b64 exec, exec, s[22:23]
	s_and_b64 s[2:3], s[42:43], exec
.LBB4_58:
	s_or_b64 exec, exec, s[26:27]
	s_orn2_b64 s[6:7], s[2:3], exec
.LBB4_59:
	s_or_b64 exec, exec, s[24:25]
	s_and_b64 exec, exec, s[6:7]
	s_cbranch_execz .LBB4_61
; %bb.60:
	s_load_dwordx2 s[0:1], s[0:1], 0x48
	v_mov_b32_e32 v0, 0
	s_waitcnt lgkmcnt(0)
	global_store_dword v0, v13, s[0:1]
.LBB4_61:
	s_endpgm
	.section	.rodata,"a",@progbits
	.p2align	6, 0x0
	.amdhsa_kernel _ZN9rocsparseL25check_matrix_gebsr_deviceILj256E21rocsparse_complex_numIfEiiEEv20rocsparse_direction_T2_S4_T1_S4_S4_PKT0_PKS5_PKS4_SC_21rocsparse_index_base_22rocsparse_matrix_type_20rocsparse_fill_mode_23rocsparse_storage_mode_P22rocsparse_data_status_
		.amdhsa_group_segment_fixed_size 0
		.amdhsa_private_segment_fixed_size 0
		.amdhsa_kernarg_size 80
		.amdhsa_user_sgpr_count 2
		.amdhsa_user_sgpr_dispatch_ptr 0
		.amdhsa_user_sgpr_queue_ptr 0
		.amdhsa_user_sgpr_kernarg_segment_ptr 1
		.amdhsa_user_sgpr_dispatch_id 0
		.amdhsa_user_sgpr_kernarg_preload_length 0
		.amdhsa_user_sgpr_kernarg_preload_offset 0
		.amdhsa_user_sgpr_private_segment_size 0
		.amdhsa_uses_dynamic_stack 0
		.amdhsa_enable_private_segment 0
		.amdhsa_system_sgpr_workgroup_id_x 1
		.amdhsa_system_sgpr_workgroup_id_y 0
		.amdhsa_system_sgpr_workgroup_id_z 0
		.amdhsa_system_sgpr_workgroup_info 0
		.amdhsa_system_vgpr_workitem_id 0
		.amdhsa_next_free_vgpr 15
		.amdhsa_next_free_sgpr 74
		.amdhsa_accum_offset 16
		.amdhsa_reserve_vcc 1
		.amdhsa_float_round_mode_32 0
		.amdhsa_float_round_mode_16_64 0
		.amdhsa_float_denorm_mode_32 3
		.amdhsa_float_denorm_mode_16_64 3
		.amdhsa_dx10_clamp 1
		.amdhsa_ieee_mode 1
		.amdhsa_fp16_overflow 0
		.amdhsa_tg_split 0
		.amdhsa_exception_fp_ieee_invalid_op 0
		.amdhsa_exception_fp_denorm_src 0
		.amdhsa_exception_fp_ieee_div_zero 0
		.amdhsa_exception_fp_ieee_overflow 0
		.amdhsa_exception_fp_ieee_underflow 0
		.amdhsa_exception_fp_ieee_inexact 0
		.amdhsa_exception_int_div_zero 0
	.end_amdhsa_kernel
	.section	.text._ZN9rocsparseL25check_matrix_gebsr_deviceILj256E21rocsparse_complex_numIfEiiEEv20rocsparse_direction_T2_S4_T1_S4_S4_PKT0_PKS5_PKS4_SC_21rocsparse_index_base_22rocsparse_matrix_type_20rocsparse_fill_mode_23rocsparse_storage_mode_P22rocsparse_data_status_,"axG",@progbits,_ZN9rocsparseL25check_matrix_gebsr_deviceILj256E21rocsparse_complex_numIfEiiEEv20rocsparse_direction_T2_S4_T1_S4_S4_PKT0_PKS5_PKS4_SC_21rocsparse_index_base_22rocsparse_matrix_type_20rocsparse_fill_mode_23rocsparse_storage_mode_P22rocsparse_data_status_,comdat
.Lfunc_end4:
	.size	_ZN9rocsparseL25check_matrix_gebsr_deviceILj256E21rocsparse_complex_numIfEiiEEv20rocsparse_direction_T2_S4_T1_S4_S4_PKT0_PKS5_PKS4_SC_21rocsparse_index_base_22rocsparse_matrix_type_20rocsparse_fill_mode_23rocsparse_storage_mode_P22rocsparse_data_status_, .Lfunc_end4-_ZN9rocsparseL25check_matrix_gebsr_deviceILj256E21rocsparse_complex_numIfEiiEEv20rocsparse_direction_T2_S4_T1_S4_S4_PKT0_PKS5_PKS4_SC_21rocsparse_index_base_22rocsparse_matrix_type_20rocsparse_fill_mode_23rocsparse_storage_mode_P22rocsparse_data_status_
                                        ; -- End function
	.set _ZN9rocsparseL25check_matrix_gebsr_deviceILj256E21rocsparse_complex_numIfEiiEEv20rocsparse_direction_T2_S4_T1_S4_S4_PKT0_PKS5_PKS4_SC_21rocsparse_index_base_22rocsparse_matrix_type_20rocsparse_fill_mode_23rocsparse_storage_mode_P22rocsparse_data_status_.num_vgpr, 15
	.set _ZN9rocsparseL25check_matrix_gebsr_deviceILj256E21rocsparse_complex_numIfEiiEEv20rocsparse_direction_T2_S4_T1_S4_S4_PKT0_PKS5_PKS4_SC_21rocsparse_index_base_22rocsparse_matrix_type_20rocsparse_fill_mode_23rocsparse_storage_mode_P22rocsparse_data_status_.num_agpr, 0
	.set _ZN9rocsparseL25check_matrix_gebsr_deviceILj256E21rocsparse_complex_numIfEiiEEv20rocsparse_direction_T2_S4_T1_S4_S4_PKT0_PKS5_PKS4_SC_21rocsparse_index_base_22rocsparse_matrix_type_20rocsparse_fill_mode_23rocsparse_storage_mode_P22rocsparse_data_status_.numbered_sgpr, 74
	.set _ZN9rocsparseL25check_matrix_gebsr_deviceILj256E21rocsparse_complex_numIfEiiEEv20rocsparse_direction_T2_S4_T1_S4_S4_PKT0_PKS5_PKS4_SC_21rocsparse_index_base_22rocsparse_matrix_type_20rocsparse_fill_mode_23rocsparse_storage_mode_P22rocsparse_data_status_.num_named_barrier, 0
	.set _ZN9rocsparseL25check_matrix_gebsr_deviceILj256E21rocsparse_complex_numIfEiiEEv20rocsparse_direction_T2_S4_T1_S4_S4_PKT0_PKS5_PKS4_SC_21rocsparse_index_base_22rocsparse_matrix_type_20rocsparse_fill_mode_23rocsparse_storage_mode_P22rocsparse_data_status_.private_seg_size, 0
	.set _ZN9rocsparseL25check_matrix_gebsr_deviceILj256E21rocsparse_complex_numIfEiiEEv20rocsparse_direction_T2_S4_T1_S4_S4_PKT0_PKS5_PKS4_SC_21rocsparse_index_base_22rocsparse_matrix_type_20rocsparse_fill_mode_23rocsparse_storage_mode_P22rocsparse_data_status_.uses_vcc, 1
	.set _ZN9rocsparseL25check_matrix_gebsr_deviceILj256E21rocsparse_complex_numIfEiiEEv20rocsparse_direction_T2_S4_T1_S4_S4_PKT0_PKS5_PKS4_SC_21rocsparse_index_base_22rocsparse_matrix_type_20rocsparse_fill_mode_23rocsparse_storage_mode_P22rocsparse_data_status_.uses_flat_scratch, 0
	.set _ZN9rocsparseL25check_matrix_gebsr_deviceILj256E21rocsparse_complex_numIfEiiEEv20rocsparse_direction_T2_S4_T1_S4_S4_PKT0_PKS5_PKS4_SC_21rocsparse_index_base_22rocsparse_matrix_type_20rocsparse_fill_mode_23rocsparse_storage_mode_P22rocsparse_data_status_.has_dyn_sized_stack, 0
	.set _ZN9rocsparseL25check_matrix_gebsr_deviceILj256E21rocsparse_complex_numIfEiiEEv20rocsparse_direction_T2_S4_T1_S4_S4_PKT0_PKS5_PKS4_SC_21rocsparse_index_base_22rocsparse_matrix_type_20rocsparse_fill_mode_23rocsparse_storage_mode_P22rocsparse_data_status_.has_recursion, 0
	.set _ZN9rocsparseL25check_matrix_gebsr_deviceILj256E21rocsparse_complex_numIfEiiEEv20rocsparse_direction_T2_S4_T1_S4_S4_PKT0_PKS5_PKS4_SC_21rocsparse_index_base_22rocsparse_matrix_type_20rocsparse_fill_mode_23rocsparse_storage_mode_P22rocsparse_data_status_.has_indirect_call, 0
	.section	.AMDGPU.csdata,"",@progbits
; Kernel info:
; codeLenInByte = 1560
; TotalNumSgprs: 80
; NumVgprs: 15
; NumAgprs: 0
; TotalNumVgprs: 15
; ScratchSize: 0
; MemoryBound: 0
; FloatMode: 240
; IeeeMode: 1
; LDSByteSize: 0 bytes/workgroup (compile time only)
; SGPRBlocks: 9
; VGPRBlocks: 1
; NumSGPRsForWavesPerEU: 80
; NumVGPRsForWavesPerEU: 15
; AccumOffset: 16
; Occupancy: 8
; WaveLimiterHint : 0
; COMPUTE_PGM_RSRC2:SCRATCH_EN: 0
; COMPUTE_PGM_RSRC2:USER_SGPR: 2
; COMPUTE_PGM_RSRC2:TRAP_HANDLER: 0
; COMPUTE_PGM_RSRC2:TGID_X_EN: 1
; COMPUTE_PGM_RSRC2:TGID_Y_EN: 0
; COMPUTE_PGM_RSRC2:TGID_Z_EN: 0
; COMPUTE_PGM_RSRC2:TIDIG_COMP_CNT: 0
; COMPUTE_PGM_RSRC3_GFX90A:ACCUM_OFFSET: 3
; COMPUTE_PGM_RSRC3_GFX90A:TG_SPLIT: 0
	.section	.text._ZN9rocsparseL25check_matrix_gebsr_deviceILj256E21rocsparse_complex_numIdEiiEEv20rocsparse_direction_T2_S4_T1_S4_S4_PKT0_PKS5_PKS4_SC_21rocsparse_index_base_22rocsparse_matrix_type_20rocsparse_fill_mode_23rocsparse_storage_mode_P22rocsparse_data_status_,"axG",@progbits,_ZN9rocsparseL25check_matrix_gebsr_deviceILj256E21rocsparse_complex_numIdEiiEEv20rocsparse_direction_T2_S4_T1_S4_S4_PKT0_PKS5_PKS4_SC_21rocsparse_index_base_22rocsparse_matrix_type_20rocsparse_fill_mode_23rocsparse_storage_mode_P22rocsparse_data_status_,comdat
	.globl	_ZN9rocsparseL25check_matrix_gebsr_deviceILj256E21rocsparse_complex_numIdEiiEEv20rocsparse_direction_T2_S4_T1_S4_S4_PKT0_PKS5_PKS4_SC_21rocsparse_index_base_22rocsparse_matrix_type_20rocsparse_fill_mode_23rocsparse_storage_mode_P22rocsparse_data_status_ ; -- Begin function _ZN9rocsparseL25check_matrix_gebsr_deviceILj256E21rocsparse_complex_numIdEiiEEv20rocsparse_direction_T2_S4_T1_S4_S4_PKT0_PKS5_PKS4_SC_21rocsparse_index_base_22rocsparse_matrix_type_20rocsparse_fill_mode_23rocsparse_storage_mode_P22rocsparse_data_status_
	.p2align	8
	.type	_ZN9rocsparseL25check_matrix_gebsr_deviceILj256E21rocsparse_complex_numIdEiiEEv20rocsparse_direction_T2_S4_T1_S4_S4_PKT0_PKS5_PKS4_SC_21rocsparse_index_base_22rocsparse_matrix_type_20rocsparse_fill_mode_23rocsparse_storage_mode_P22rocsparse_data_status_,@function
_ZN9rocsparseL25check_matrix_gebsr_deviceILj256E21rocsparse_complex_numIdEiiEEv20rocsparse_direction_T2_S4_T1_S4_S4_PKT0_PKS5_PKS4_SC_21rocsparse_index_base_22rocsparse_matrix_type_20rocsparse_fill_mode_23rocsparse_storage_mode_P22rocsparse_data_status_: ; @_ZN9rocsparseL25check_matrix_gebsr_deviceILj256E21rocsparse_complex_numIdEiiEEv20rocsparse_direction_T2_S4_T1_S4_S4_PKT0_PKS5_PKS4_SC_21rocsparse_index_base_22rocsparse_matrix_type_20rocsparse_fill_mode_23rocsparse_storage_mode_P22rocsparse_data_status_
; %bb.0:
	s_load_dwordx4 s[16:19], s[0:1], 0x0
	v_lshl_or_b32 v4, s2, 8, v0
	s_waitcnt lgkmcnt(0)
	v_cmp_gt_i32_e32 vcc, s17, v4
	s_and_saveexec_b64 s[2:3], vcc
	s_cbranch_execz .LBB5_61
; %bb.1:
	s_load_dwordx2 s[2:3], s[0:1], 0x20
	v_ashrrev_i32_e32 v5, 31, v4
	s_mov_b64 s[6:7], -1
	v_mov_b32_e32 v15, 3
	s_waitcnt lgkmcnt(0)
	v_lshl_add_u64 v[0:1], v[4:5], 2, s[2:3]
	global_load_dwordx2 v[0:1], v[0:1], off
	s_load_dword s2, s[2:3], 0x0
	s_waitcnt vmcnt(0) lgkmcnt(0)
	v_subrev_u32_e32 v12, s2, v1
	v_cmp_lt_i32_e32 vcc, v1, v0
	v_cmp_gt_i32_e64 s[4:5], 0, v12
	v_subrev_u32_e32 v5, s2, v0
	s_or_b64 s[4:5], s[4:5], vcc
	v_cmp_lt_i32_e64 s[2:3], -1, v5
	s_xor_b64 s[4:5], s[4:5], -1
	s_and_b64 s[2:3], s[2:3], s[4:5]
	s_and_saveexec_b64 s[24:25], s[2:3]
	s_cbranch_execz .LBB5_59
; %bb.2:
	v_cmp_lt_i32_e32 vcc, v0, v1
	s_mov_b64 s[2:3], 0
	v_mov_b32_e32 v15, 3
	s_and_saveexec_b64 s[26:27], vcc
	s_cbranch_execz .LBB5_58
; %bb.3:
	s_load_dwordx4 s[20:23], s[0:1], 0x10
	s_load_dwordx8 s[8:15], s[0:1], 0x28
	s_cmp_lg_u32 s16, 0
	s_cselect_b64 s[28:29], -1, 0
	s_mov_b32 s42, 0
	s_waitcnt lgkmcnt(0)
	s_mul_i32 s2, s21, s20
	s_cmp_gt_i32 s21, 0
	v_mad_u64_u32 v[0:1], s[4:5], s2, v5, 0
	s_cselect_b64 s[30:31], -1, 0
	s_cmp_gt_i32 s20, 0
	s_mul_hi_i32 s3, s21, s20
	v_mov_b32_e32 v2, v1
	s_cselect_b64 s[34:35], -1, 0
	s_cmp_lg_u32 s13, 0
	v_mad_u64_u32 v[2:3], s[4:5], s3, v5, v[2:3]
	s_cselect_b64 s[36:37], -1, 0
	s_cmp_lg_u32 s14, 0
	v_mov_b32_e32 v1, v2
	s_cselect_b64 s[38:39], -1, 0
	s_cmp_lg_u32 s15, 0
	v_lshl_add_u64 v[6:7], v[0:1], 4, s[22:23]
	v_cndmask_b32_e64 v0, 0, 1, s[34:35]
	s_mov_b32 s17, 0
	s_cselect_b64 s[14:15], -1, 0
	s_lshl_b64 s[40:41], s[2:3], 4
	s_mov_b64 s[22:23], 0
	v_mov_b32_e32 v9, 0
	v_cmp_ne_u32_e64 s[2:3], 1, v0
	s_mov_b32 s43, 0x7ff00000
	v_mov_b32_e32 v8, v5
                                        ; implicit-def: $sgpr44_sgpr45
                                        ; implicit-def: $sgpr46_sgpr47
                                        ; implicit-def: $sgpr48_sgpr49
	s_branch .LBB5_9
.LBB5_4:                                ;   in Loop: Header=BB5_9 Depth=1
	s_or_b64 exec, exec, s[60:61]
	s_orn2_b64 s[60:61], s[6:7], exec
	s_orn2_b64 s[4:5], s[4:5], exec
.LBB5_5:                                ;   in Loop: Header=BB5_9 Depth=1
	s_or_b64 exec, exec, s[58:59]
	s_orn2_b64 s[58:59], s[60:61], exec
	s_orn2_b64 s[4:5], s[4:5], exec
.LBB5_6:                                ;   in Loop: Header=BB5_9 Depth=1
	s_or_b64 exec, exec, s[56:57]
	s_orn2_b64 s[6:7], s[58:59], exec
	s_orn2_b64 s[4:5], s[4:5], exec
.LBB5_7:                                ;   in Loop: Header=BB5_9 Depth=1
	s_or_b64 exec, exec, s[52:53]
	s_andn2_b64 s[48:49], s[48:49], exec
	s_and_b64 s[6:7], s[6:7], exec
	s_or_b64 s[48:49], s[48:49], s[6:7]
	s_andn2_b64 s[6:7], s[46:47], exec
	s_and_b64 s[4:5], s[4:5], exec
	s_or_b64 s[46:47], s[6:7], s[4:5]
.LBB5_8:                                ;   in Loop: Header=BB5_9 Depth=1
	s_or_b64 exec, exec, s[50:51]
	s_and_b64 s[4:5], exec, s[46:47]
	s_or_b64 s[22:23], s[4:5], s[22:23]
	s_andn2_b64 s[4:5], s[44:45], exec
	s_and_b64 s[6:7], s[48:49], exec
	s_or_b64 s[44:45], s[4:5], s[6:7]
	s_andn2_b64 exec, exec, s[22:23]
	s_cbranch_execz .LBB5_57
.LBB5_9:                                ; =>This Loop Header: Depth=1
                                        ;     Child Loop BB5_33 Depth 2
                                        ;       Child Loop BB5_37 Depth 3
                                        ;     Child Loop BB5_17 Depth 2
                                        ;       Child Loop BB5_21 Depth 3
	v_lshl_add_u64 v[10:11], v[8:9], 2, s[8:9]
	global_load_dword v13, v[10:11], off
	v_mov_b32_e32 v15, 4
	s_or_b64 s[48:49], s[48:49], exec
	s_or_b64 s[46:47], s[46:47], exec
	s_waitcnt vmcnt(0)
	v_subrev_u32_e32 v14, s12, v13
	v_cmp_lt_i32_e32 vcc, -1, v14
	v_cmp_gt_i32_e64 s[4:5], s18, v14
	s_and_b64 s[4:5], vcc, s[4:5]
	s_and_saveexec_b64 s[50:51], s[4:5]
	s_cbranch_execz .LBB5_8
; %bb.10:                               ;   in Loop: Header=BB5_9 Depth=1
	v_cmp_le_i32_e64 s[54:55], v8, v5
	v_cmp_gt_i32_e32 vcc, v8, v5
	v_mov_b32_e32 v15, 4
	s_mov_b64 s[56:57], s[54:55]
	s_and_saveexec_b64 s[52:53], vcc
	s_cbranch_execz .LBB5_12
; %bb.11:                               ;   in Loop: Header=BB5_9 Depth=1
	v_lshl_add_u64 v[0:1], v[8:9], 2, s[10:11]
	global_load_dwordx2 v[0:1], v[0:1], off offset:-4
	v_mov_b32_e32 v15, 5
	s_waitcnt vmcnt(0)
	v_subrev_u32_e32 v2, s12, v0
	v_cmp_lt_i32_e64 s[4:5], -1, v2
	v_cmp_gt_i32_e64 s[6:7], s18, v2
	s_and_b64 s[4:5], s[4:5], s[6:7]
	v_cmp_ne_u32_e32 vcc, v1, v0
	s_xor_b64 s[4:5], s[4:5], -1
	s_or_b64 s[4:5], vcc, s[4:5]
	s_andn2_b64 s[6:7], s[54:55], exec
	s_and_b64 s[4:5], s[4:5], exec
	s_or_b64 s[56:57], s[6:7], s[4:5]
.LBB5_12:                               ;   in Loop: Header=BB5_9 Depth=1
	s_or_b64 exec, exec, s[52:53]
	s_mov_b64 s[4:5], -1
	s_mov_b64 s[6:7], -1
	s_and_saveexec_b64 s[52:53], s[56:57]
	s_cbranch_execz .LBB5_7
; %bb.13:                               ;   in Loop: Header=BB5_9 Depth=1
	s_and_b64 vcc, exec, s[28:29]
	s_cbranch_vccz .LBB5_29
; %bb.14:                               ;   in Loop: Header=BB5_9 Depth=1
	s_and_b64 vcc, exec, s[30:31]
	s_cbranch_vccz .LBB5_28
; %bb.15:                               ;   in Loop: Header=BB5_9 Depth=1
	s_mov_b32 s16, 0
	s_mov_b64 s[56:57], 0
	s_mov_b32 s13, s16
                                        ; implicit-def: $sgpr6_sgpr7
	s_branch .LBB5_17
.LBB5_16:                               ;   in Loop: Header=BB5_17 Depth=2
	s_or_b64 exec, exec, s[62:63]
	s_xor_b64 s[4:5], s[4:5], -1
	s_and_b64 s[58:59], exec, s[58:59]
	s_or_b64 s[56:57], s[58:59], s[56:57]
	s_andn2_b64 s[6:7], s[6:7], exec
	s_and_b64 s[4:5], s[4:5], exec
	s_or_b64 s[6:7], s[6:7], s[4:5]
	s_andn2_b64 exec, exec, s[56:57]
	s_cbranch_execz .LBB5_27
.LBB5_17:                               ;   Parent Loop BB5_9 Depth=1
                                        ; =>  This Loop Header: Depth=2
                                        ;       Child Loop BB5_21 Depth 3
	s_mov_b64 s[58:59], -1
	s_and_b64 vcc, exec, s[2:3]
	s_mov_b64 s[60:61], -1
                                        ; implicit-def: $vgpr15
	s_cbranch_vccnz .LBB5_25
; %bb.18:                               ;   in Loop: Header=BB5_17 Depth=2
	s_lshl_b64 s[64:65], s[16:17], 4
	s_mov_b64 s[62:63], 0
	s_mov_b32 s19, s20
                                        ; implicit-def: $sgpr60_sgpr61
                                        ; implicit-def: $sgpr66_sgpr67
                                        ; implicit-def: $sgpr68_sgpr69
	s_branch .LBB5_21
.LBB5_19:                               ;   in Loop: Header=BB5_21 Depth=3
	s_or_b64 exec, exec, s[74:75]
	s_andn2_b64 s[68:69], s[68:69], exec
	s_and_b64 s[72:73], s[72:73], exec
	s_andn2_b64 s[66:67], s[66:67], exec
	s_and_b64 s[70:71], s[70:71], exec
	v_mov_b32_e32 v15, 2
	s_or_b64 s[68:69], s[68:69], s[72:73]
	s_or_b64 s[66:67], s[66:67], s[70:71]
.LBB5_20:                               ;   in Loop: Header=BB5_21 Depth=3
	s_or_b64 exec, exec, s[4:5]
	s_xor_b64 s[4:5], s[68:69], -1
	s_and_b64 s[70:71], exec, s[66:67]
	s_or_b64 s[62:63], s[70:71], s[62:63]
	s_andn2_b64 s[60:61], s[60:61], exec
	s_and_b64 s[4:5], s[4:5], exec
	s_or_b64 s[60:61], s[60:61], s[4:5]
	s_andn2_b64 exec, exec, s[62:63]
	s_cbranch_execz .LBB5_24
.LBB5_21:                               ;   Parent Loop BB5_9 Depth=1
                                        ;     Parent Loop BB5_17 Depth=2
                                        ; =>    This Inner Loop Header: Depth=3
	v_lshl_add_u64 v[0:1], v[6:7], 0, s[64:65]
	global_load_dwordx4 v[0:3], v[0:1], off
	v_mov_b32_e32 v15, 1
	s_or_b64 s[68:69], s[68:69], exec
	s_or_b64 s[66:67], s[66:67], exec
	s_waitcnt vmcnt(0)
	v_cmp_neq_f64_e32 vcc, s[42:43], v[0:1]
	v_cmp_neq_f64_e64 s[4:5], s[42:43], v[2:3]
	s_and_b64 s[4:5], vcc, s[4:5]
	s_and_saveexec_b64 s[70:71], s[4:5]
	s_xor_b64 s[4:5], exec, s[70:71]
	s_cbranch_execz .LBB5_20
; %bb.22:                               ;   in Loop: Header=BB5_21 Depth=3
	v_cmp_o_f64_e32 vcc, v[0:1], v[2:3]
	s_mov_b64 s[70:71], -1
	s_mov_b64 s[72:73], -1
	s_and_saveexec_b64 s[74:75], vcc
	s_cbranch_execz .LBB5_19
; %bb.23:                               ;   in Loop: Header=BB5_21 Depth=3
	s_add_i32 s19, s19, -1
	s_add_u32 s64, s64, 16
	s_addc_u32 s65, s65, 0
	s_cmp_eq_u32 s19, 0
	s_cselect_b64 s[70:71], -1, 0
	s_xor_b64 s[72:73], exec, -1
	s_orn2_b64 s[70:71], s[70:71], exec
	s_branch .LBB5_19
.LBB5_24:                               ;   in Loop: Header=BB5_17 Depth=2
	s_or_b64 exec, exec, s[62:63]
.LBB5_25:                               ;   in Loop: Header=BB5_17 Depth=2
	s_mov_b64 s[4:5], -1
	s_and_saveexec_b64 s[62:63], s[60:61]
	s_cbranch_execz .LBB5_16
; %bb.26:                               ;   in Loop: Header=BB5_17 Depth=2
	s_add_i32 s13, s13, 1
	s_add_i32 s16, s16, s20
	s_cmp_eq_u32 s13, s21
	s_cselect_b64 s[58:59], -1, 0
	s_xor_b64 s[4:5], exec, -1
	s_orn2_b64 s[58:59], s[58:59], exec
	s_branch .LBB5_16
.LBB5_27:                               ;   in Loop: Header=BB5_9 Depth=1
	s_or_b64 exec, exec, s[56:57]
.LBB5_28:                               ;   in Loop: Header=BB5_9 Depth=1
	s_branch .LBB5_44
.LBB5_29:                               ;   in Loop: Header=BB5_9 Depth=1
	s_mov_b64 s[6:7], 0
	s_and_b64 vcc, exec, s[4:5]
	s_cbranch_vccz .LBB5_44
; %bb.30:                               ;   in Loop: Header=BB5_9 Depth=1
	s_and_b64 vcc, exec, s[34:35]
	s_cbranch_vccz .LBB5_48
; %bb.31:                               ;   in Loop: Header=BB5_9 Depth=1
	s_mov_b32 s16, 0
	s_mov_b64 s[56:57], 0
	s_mov_b32 s13, s16
                                        ; implicit-def: $sgpr6_sgpr7
	s_branch .LBB5_33
.LBB5_32:                               ;   in Loop: Header=BB5_33 Depth=2
	s_or_b64 exec, exec, s[62:63]
	s_xor_b64 s[4:5], s[4:5], -1
	s_and_b64 s[58:59], exec, s[58:59]
	s_or_b64 s[56:57], s[58:59], s[56:57]
	s_andn2_b64 s[6:7], s[6:7], exec
	s_and_b64 s[4:5], s[4:5], exec
	s_or_b64 s[6:7], s[6:7], s[4:5]
	s_andn2_b64 exec, exec, s[56:57]
	s_cbranch_execz .LBB5_43
.LBB5_33:                               ;   Parent Loop BB5_9 Depth=1
                                        ; =>  This Loop Header: Depth=2
                                        ;       Child Loop BB5_37 Depth 3
	s_mov_b64 s[58:59], -1
	s_andn2_b64 vcc, exec, s[30:31]
	s_mov_b64 s[60:61], -1
                                        ; implicit-def: $vgpr15
	s_cbranch_vccnz .LBB5_41
; %bb.34:                               ;   in Loop: Header=BB5_33 Depth=2
	s_lshl_b64 s[64:65], s[16:17], 4
	s_mov_b64 s[62:63], 0
	s_mov_b32 s19, s21
                                        ; implicit-def: $sgpr60_sgpr61
                                        ; implicit-def: $sgpr66_sgpr67
                                        ; implicit-def: $sgpr68_sgpr69
	s_branch .LBB5_37
.LBB5_35:                               ;   in Loop: Header=BB5_37 Depth=3
	s_or_b64 exec, exec, s[74:75]
	s_andn2_b64 s[68:69], s[68:69], exec
	s_and_b64 s[72:73], s[72:73], exec
	s_andn2_b64 s[66:67], s[66:67], exec
	s_and_b64 s[70:71], s[70:71], exec
	v_mov_b32_e32 v15, 2
	s_or_b64 s[68:69], s[68:69], s[72:73]
	s_or_b64 s[66:67], s[66:67], s[70:71]
.LBB5_36:                               ;   in Loop: Header=BB5_37 Depth=3
	s_or_b64 exec, exec, s[4:5]
	s_xor_b64 s[4:5], s[68:69], -1
	s_and_b64 s[70:71], exec, s[66:67]
	s_or_b64 s[62:63], s[70:71], s[62:63]
	s_andn2_b64 s[60:61], s[60:61], exec
	s_and_b64 s[4:5], s[4:5], exec
	s_or_b64 s[60:61], s[60:61], s[4:5]
	s_andn2_b64 exec, exec, s[62:63]
	s_cbranch_execz .LBB5_40
.LBB5_37:                               ;   Parent Loop BB5_9 Depth=1
                                        ;     Parent Loop BB5_33 Depth=2
                                        ; =>    This Inner Loop Header: Depth=3
	v_lshl_add_u64 v[0:1], v[6:7], 0, s[64:65]
	global_load_dwordx4 v[0:3], v[0:1], off
	v_mov_b32_e32 v15, 1
	s_or_b64 s[68:69], s[68:69], exec
	s_or_b64 s[66:67], s[66:67], exec
	s_waitcnt vmcnt(0)
	v_cmp_neq_f64_e32 vcc, s[42:43], v[0:1]
	v_cmp_neq_f64_e64 s[4:5], s[42:43], v[2:3]
	s_and_b64 s[4:5], vcc, s[4:5]
	s_and_saveexec_b64 s[70:71], s[4:5]
	s_xor_b64 s[4:5], exec, s[70:71]
	s_cbranch_execz .LBB5_36
; %bb.38:                               ;   in Loop: Header=BB5_37 Depth=3
	v_cmp_o_f64_e32 vcc, v[0:1], v[2:3]
	s_mov_b64 s[70:71], -1
	s_mov_b64 s[72:73], -1
	s_and_saveexec_b64 s[74:75], vcc
	s_cbranch_execz .LBB5_35
; %bb.39:                               ;   in Loop: Header=BB5_37 Depth=3
	s_add_i32 s19, s19, -1
	s_add_u32 s64, s64, 16
	s_addc_u32 s65, s65, 0
	s_cmp_eq_u32 s19, 0
	s_cselect_b64 s[70:71], -1, 0
	s_xor_b64 s[72:73], exec, -1
	s_orn2_b64 s[70:71], s[70:71], exec
	s_branch .LBB5_35
.LBB5_40:                               ;   in Loop: Header=BB5_33 Depth=2
	s_or_b64 exec, exec, s[62:63]
.LBB5_41:                               ;   in Loop: Header=BB5_33 Depth=2
	s_mov_b64 s[4:5], -1
	s_and_saveexec_b64 s[62:63], s[60:61]
	s_cbranch_execz .LBB5_32
; %bb.42:                               ;   in Loop: Header=BB5_33 Depth=2
	s_add_i32 s13, s13, 1
	s_add_i32 s16, s16, s21
	s_cmp_eq_u32 s13, s20
	s_cselect_b64 s[58:59], -1, 0
	s_xor_b64 s[4:5], exec, -1
	s_orn2_b64 s[58:59], s[58:59], exec
	s_branch .LBB5_32
.LBB5_43:                               ;   in Loop: Header=BB5_9 Depth=1
	s_or_b64 exec, exec, s[56:57]
.LBB5_44:                               ;   in Loop: Header=BB5_9 Depth=1
	s_mov_b64 s[4:5], -1
	s_mov_b64 s[58:59], -1
	s_and_saveexec_b64 s[56:57], s[6:7]
	s_cbranch_execz .LBB5_6
.LBB5_45:                               ;   in Loop: Header=BB5_9 Depth=1
	s_and_b64 vcc, exec, s[36:37]
	s_cbranch_vccz .LBB5_49
; %bb.46:                               ;   in Loop: Header=BB5_9 Depth=1
	s_and_b64 vcc, exec, s[38:39]
	s_cbranch_vccz .LBB5_50
; %bb.47:                               ;   in Loop: Header=BB5_9 Depth=1
	v_cmp_le_i32_e32 vcc, v4, v14
	v_mov_b32_e32 v15, 7
	s_and_b64 s[6:7], vcc, exec
	s_cbranch_execz .LBB5_51
	s_branch .LBB5_52
.LBB5_48:                               ;   in Loop: Header=BB5_9 Depth=1
	s_mov_b64 s[6:7], -1
	s_mov_b64 s[4:5], -1
	;; [unrolled: 1-line block ×3, first 2 shown]
	s_and_saveexec_b64 s[56:57], s[6:7]
	s_cbranch_execz .LBB5_6
	s_branch .LBB5_45
.LBB5_49:                               ;   in Loop: Header=BB5_9 Depth=1
	s_mov_b64 s[6:7], -1
	s_branch .LBB5_52
.LBB5_50:                               ;   in Loop: Header=BB5_9 Depth=1
	s_mov_b64 s[6:7], 0
	s_andn2_b64 vcc, exec, s[58:59]
	s_cbranch_vccnz .LBB5_52
.LBB5_51:                               ;   in Loop: Header=BB5_9 Depth=1
	v_cmp_ge_i32_e32 vcc, v4, v14
	s_andn2_b64 s[6:7], s[6:7], exec
	s_and_b64 s[58:59], vcc, exec
	v_mov_b32_e32 v15, 7
	s_or_b64 s[6:7], s[6:7], s[58:59]
.LBB5_52:                               ;   in Loop: Header=BB5_9 Depth=1
	s_mov_b64 s[60:61], -1
	s_and_saveexec_b64 s[58:59], s[6:7]
	s_cbranch_execz .LBB5_5
; %bb.53:                               ;   in Loop: Header=BB5_9 Depth=1
	s_or_b64 s[54:55], s[14:15], s[54:55]
	s_xor_b64 s[4:5], s[54:55], -1
	s_and_saveexec_b64 s[60:61], s[4:5]
	s_cbranch_execz .LBB5_55
; %bb.54:                               ;   in Loop: Header=BB5_9 Depth=1
	global_load_dword v0, v[10:11], off offset:-4
	v_mov_b32_e32 v15, 6
	s_waitcnt vmcnt(0)
	v_subrev_u32_e32 v1, s12, v0
	v_cmp_lt_i32_e64 s[4:5], -1, v1
	v_cmp_gt_i32_e64 s[6:7], s18, v1
	s_and_b64 s[4:5], s[4:5], s[6:7]
	v_cmp_gt_i32_e32 vcc, v13, v0
	s_xor_b64 s[4:5], s[4:5], -1
	s_or_b64 s[4:5], vcc, s[4:5]
	s_andn2_b64 s[6:7], s[54:55], exec
	s_and_b64 s[4:5], s[4:5], exec
	s_or_b64 s[54:55], s[6:7], s[4:5]
.LBB5_55:                               ;   in Loop: Header=BB5_9 Depth=1
	s_or_b64 exec, exec, s[60:61]
	s_mov_b64 s[4:5], -1
	s_mov_b64 s[6:7], -1
	s_and_saveexec_b64 s[60:61], s[54:55]
	s_cbranch_execz .LBB5_4
; %bb.56:                               ;   in Loop: Header=BB5_9 Depth=1
	v_add_u32_e32 v8, 1, v8
	v_cmp_ge_i32_e32 vcc, v8, v12
	v_lshl_add_u64 v[6:7], v[6:7], 0, s[40:41]
	s_xor_b64 s[6:7], exec, -1
	s_orn2_b64 s[4:5], vcc, exec
	s_branch .LBB5_4
.LBB5_57:
	s_or_b64 exec, exec, s[22:23]
	s_and_b64 s[2:3], s[44:45], exec
.LBB5_58:
	s_or_b64 exec, exec, s[26:27]
	s_orn2_b64 s[6:7], s[2:3], exec
.LBB5_59:
	s_or_b64 exec, exec, s[24:25]
	s_and_b64 exec, exec, s[6:7]
	s_cbranch_execz .LBB5_61
; %bb.60:
	s_load_dwordx2 s[0:1], s[0:1], 0x48
	v_mov_b32_e32 v0, 0
	s_waitcnt lgkmcnt(0)
	global_store_dword v0, v15, s[0:1]
.LBB5_61:
	s_endpgm
	.section	.rodata,"a",@progbits
	.p2align	6, 0x0
	.amdhsa_kernel _ZN9rocsparseL25check_matrix_gebsr_deviceILj256E21rocsparse_complex_numIdEiiEEv20rocsparse_direction_T2_S4_T1_S4_S4_PKT0_PKS5_PKS4_SC_21rocsparse_index_base_22rocsparse_matrix_type_20rocsparse_fill_mode_23rocsparse_storage_mode_P22rocsparse_data_status_
		.amdhsa_group_segment_fixed_size 0
		.amdhsa_private_segment_fixed_size 0
		.amdhsa_kernarg_size 80
		.amdhsa_user_sgpr_count 2
		.amdhsa_user_sgpr_dispatch_ptr 0
		.amdhsa_user_sgpr_queue_ptr 0
		.amdhsa_user_sgpr_kernarg_segment_ptr 1
		.amdhsa_user_sgpr_dispatch_id 0
		.amdhsa_user_sgpr_kernarg_preload_length 0
		.amdhsa_user_sgpr_kernarg_preload_offset 0
		.amdhsa_user_sgpr_private_segment_size 0
		.amdhsa_uses_dynamic_stack 0
		.amdhsa_enable_private_segment 0
		.amdhsa_system_sgpr_workgroup_id_x 1
		.amdhsa_system_sgpr_workgroup_id_y 0
		.amdhsa_system_sgpr_workgroup_id_z 0
		.amdhsa_system_sgpr_workgroup_info 0
		.amdhsa_system_vgpr_workitem_id 0
		.amdhsa_next_free_vgpr 16
		.amdhsa_next_free_sgpr 76
		.amdhsa_accum_offset 16
		.amdhsa_reserve_vcc 1
		.amdhsa_float_round_mode_32 0
		.amdhsa_float_round_mode_16_64 0
		.amdhsa_float_denorm_mode_32 3
		.amdhsa_float_denorm_mode_16_64 3
		.amdhsa_dx10_clamp 1
		.amdhsa_ieee_mode 1
		.amdhsa_fp16_overflow 0
		.amdhsa_tg_split 0
		.amdhsa_exception_fp_ieee_invalid_op 0
		.amdhsa_exception_fp_denorm_src 0
		.amdhsa_exception_fp_ieee_div_zero 0
		.amdhsa_exception_fp_ieee_overflow 0
		.amdhsa_exception_fp_ieee_underflow 0
		.amdhsa_exception_fp_ieee_inexact 0
		.amdhsa_exception_int_div_zero 0
	.end_amdhsa_kernel
	.section	.text._ZN9rocsparseL25check_matrix_gebsr_deviceILj256E21rocsparse_complex_numIdEiiEEv20rocsparse_direction_T2_S4_T1_S4_S4_PKT0_PKS5_PKS4_SC_21rocsparse_index_base_22rocsparse_matrix_type_20rocsparse_fill_mode_23rocsparse_storage_mode_P22rocsparse_data_status_,"axG",@progbits,_ZN9rocsparseL25check_matrix_gebsr_deviceILj256E21rocsparse_complex_numIdEiiEEv20rocsparse_direction_T2_S4_T1_S4_S4_PKT0_PKS5_PKS4_SC_21rocsparse_index_base_22rocsparse_matrix_type_20rocsparse_fill_mode_23rocsparse_storage_mode_P22rocsparse_data_status_,comdat
.Lfunc_end5:
	.size	_ZN9rocsparseL25check_matrix_gebsr_deviceILj256E21rocsparse_complex_numIdEiiEEv20rocsparse_direction_T2_S4_T1_S4_S4_PKT0_PKS5_PKS4_SC_21rocsparse_index_base_22rocsparse_matrix_type_20rocsparse_fill_mode_23rocsparse_storage_mode_P22rocsparse_data_status_, .Lfunc_end5-_ZN9rocsparseL25check_matrix_gebsr_deviceILj256E21rocsparse_complex_numIdEiiEEv20rocsparse_direction_T2_S4_T1_S4_S4_PKT0_PKS5_PKS4_SC_21rocsparse_index_base_22rocsparse_matrix_type_20rocsparse_fill_mode_23rocsparse_storage_mode_P22rocsparse_data_status_
                                        ; -- End function
	.set _ZN9rocsparseL25check_matrix_gebsr_deviceILj256E21rocsparse_complex_numIdEiiEEv20rocsparse_direction_T2_S4_T1_S4_S4_PKT0_PKS5_PKS4_SC_21rocsparse_index_base_22rocsparse_matrix_type_20rocsparse_fill_mode_23rocsparse_storage_mode_P22rocsparse_data_status_.num_vgpr, 16
	.set _ZN9rocsparseL25check_matrix_gebsr_deviceILj256E21rocsparse_complex_numIdEiiEEv20rocsparse_direction_T2_S4_T1_S4_S4_PKT0_PKS5_PKS4_SC_21rocsparse_index_base_22rocsparse_matrix_type_20rocsparse_fill_mode_23rocsparse_storage_mode_P22rocsparse_data_status_.num_agpr, 0
	.set _ZN9rocsparseL25check_matrix_gebsr_deviceILj256E21rocsparse_complex_numIdEiiEEv20rocsparse_direction_T2_S4_T1_S4_S4_PKT0_PKS5_PKS4_SC_21rocsparse_index_base_22rocsparse_matrix_type_20rocsparse_fill_mode_23rocsparse_storage_mode_P22rocsparse_data_status_.numbered_sgpr, 76
	.set _ZN9rocsparseL25check_matrix_gebsr_deviceILj256E21rocsparse_complex_numIdEiiEEv20rocsparse_direction_T2_S4_T1_S4_S4_PKT0_PKS5_PKS4_SC_21rocsparse_index_base_22rocsparse_matrix_type_20rocsparse_fill_mode_23rocsparse_storage_mode_P22rocsparse_data_status_.num_named_barrier, 0
	.set _ZN9rocsparseL25check_matrix_gebsr_deviceILj256E21rocsparse_complex_numIdEiiEEv20rocsparse_direction_T2_S4_T1_S4_S4_PKT0_PKS5_PKS4_SC_21rocsparse_index_base_22rocsparse_matrix_type_20rocsparse_fill_mode_23rocsparse_storage_mode_P22rocsparse_data_status_.private_seg_size, 0
	.set _ZN9rocsparseL25check_matrix_gebsr_deviceILj256E21rocsparse_complex_numIdEiiEEv20rocsparse_direction_T2_S4_T1_S4_S4_PKT0_PKS5_PKS4_SC_21rocsparse_index_base_22rocsparse_matrix_type_20rocsparse_fill_mode_23rocsparse_storage_mode_P22rocsparse_data_status_.uses_vcc, 1
	.set _ZN9rocsparseL25check_matrix_gebsr_deviceILj256E21rocsparse_complex_numIdEiiEEv20rocsparse_direction_T2_S4_T1_S4_S4_PKT0_PKS5_PKS4_SC_21rocsparse_index_base_22rocsparse_matrix_type_20rocsparse_fill_mode_23rocsparse_storage_mode_P22rocsparse_data_status_.uses_flat_scratch, 0
	.set _ZN9rocsparseL25check_matrix_gebsr_deviceILj256E21rocsparse_complex_numIdEiiEEv20rocsparse_direction_T2_S4_T1_S4_S4_PKT0_PKS5_PKS4_SC_21rocsparse_index_base_22rocsparse_matrix_type_20rocsparse_fill_mode_23rocsparse_storage_mode_P22rocsparse_data_status_.has_dyn_sized_stack, 0
	.set _ZN9rocsparseL25check_matrix_gebsr_deviceILj256E21rocsparse_complex_numIdEiiEEv20rocsparse_direction_T2_S4_T1_S4_S4_PKT0_PKS5_PKS4_SC_21rocsparse_index_base_22rocsparse_matrix_type_20rocsparse_fill_mode_23rocsparse_storage_mode_P22rocsparse_data_status_.has_recursion, 0
	.set _ZN9rocsparseL25check_matrix_gebsr_deviceILj256E21rocsparse_complex_numIdEiiEEv20rocsparse_direction_T2_S4_T1_S4_S4_PKT0_PKS5_PKS4_SC_21rocsparse_index_base_22rocsparse_matrix_type_20rocsparse_fill_mode_23rocsparse_storage_mode_P22rocsparse_data_status_.has_indirect_call, 0
	.section	.AMDGPU.csdata,"",@progbits
; Kernel info:
; codeLenInByte = 1564
; TotalNumSgprs: 82
; NumVgprs: 16
; NumAgprs: 0
; TotalNumVgprs: 16
; ScratchSize: 0
; MemoryBound: 0
; FloatMode: 240
; IeeeMode: 1
; LDSByteSize: 0 bytes/workgroup (compile time only)
; SGPRBlocks: 10
; VGPRBlocks: 1
; NumSGPRsForWavesPerEU: 82
; NumVGPRsForWavesPerEU: 16
; AccumOffset: 16
; Occupancy: 8
; WaveLimiterHint : 0
; COMPUTE_PGM_RSRC2:SCRATCH_EN: 0
; COMPUTE_PGM_RSRC2:USER_SGPR: 2
; COMPUTE_PGM_RSRC2:TRAP_HANDLER: 0
; COMPUTE_PGM_RSRC2:TGID_X_EN: 1
; COMPUTE_PGM_RSRC2:TGID_Y_EN: 0
; COMPUTE_PGM_RSRC2:TGID_Z_EN: 0
; COMPUTE_PGM_RSRC2:TIDIG_COMP_CNT: 0
; COMPUTE_PGM_RSRC3_GFX90A:ACCUM_OFFSET: 3
; COMPUTE_PGM_RSRC3_GFX90A:TG_SPLIT: 0
	.section	.text._ZN9rocsparseL19check_row_ptr_arrayILj256EliEEvT1_PKT0_P22rocsparse_data_status_,"axG",@progbits,_ZN9rocsparseL19check_row_ptr_arrayILj256EliEEvT1_PKT0_P22rocsparse_data_status_,comdat
	.globl	_ZN9rocsparseL19check_row_ptr_arrayILj256EliEEvT1_PKT0_P22rocsparse_data_status_ ; -- Begin function _ZN9rocsparseL19check_row_ptr_arrayILj256EliEEvT1_PKT0_P22rocsparse_data_status_
	.p2align	8
	.type	_ZN9rocsparseL19check_row_ptr_arrayILj256EliEEvT1_PKT0_P22rocsparse_data_status_,@function
_ZN9rocsparseL19check_row_ptr_arrayILj256EliEEvT1_PKT0_P22rocsparse_data_status_: ; @_ZN9rocsparseL19check_row_ptr_arrayILj256EliEEvT1_PKT0_P22rocsparse_data_status_
; %bb.0:
	s_load_dword s4, s[0:1], 0x0
	v_lshl_or_b32 v0, s2, 8, v0
	v_mov_b32_e32 v1, 0
	s_waitcnt lgkmcnt(0)
	s_ashr_i32 s5, s4, 31
	v_cmp_gt_i64_e32 vcc, s[4:5], v[0:1]
	s_and_saveexec_b64 s[2:3], vcc
	s_cbranch_execz .LBB6_3
; %bb.1:
	s_load_dwordx2 s[2:3], s[0:1], 0x8
	s_waitcnt lgkmcnt(0)
	v_lshl_add_u64 v[0:1], v[0:1], 3, s[2:3]
	global_load_dwordx4 v[0:3], v[0:1], off
	s_load_dwordx2 s[2:3], s[2:3], 0x0
	s_waitcnt vmcnt(0) lgkmcnt(0)
	v_cmp_gt_i64_e32 vcc, s[2:3], v[0:1]
	v_cmp_gt_i64_e64 s[2:3], s[2:3], v[2:3]
	v_cmp_lt_i64_e64 s[4:5], v[2:3], v[0:1]
	s_or_b64 s[2:3], s[2:3], s[4:5]
	s_or_b64 s[2:3], vcc, s[2:3]
	s_and_b64 exec, exec, s[2:3]
	s_cbranch_execz .LBB6_3
; %bb.2:
	s_load_dwordx2 s[0:1], s[0:1], 0x10
	v_mov_b32_e32 v0, 0
	v_mov_b32_e32 v1, 3
	s_waitcnt lgkmcnt(0)
	global_store_dword v0, v1, s[0:1]
.LBB6_3:
	s_endpgm
	.section	.rodata,"a",@progbits
	.p2align	6, 0x0
	.amdhsa_kernel _ZN9rocsparseL19check_row_ptr_arrayILj256EliEEvT1_PKT0_P22rocsparse_data_status_
		.amdhsa_group_segment_fixed_size 0
		.amdhsa_private_segment_fixed_size 0
		.amdhsa_kernarg_size 24
		.amdhsa_user_sgpr_count 2
		.amdhsa_user_sgpr_dispatch_ptr 0
		.amdhsa_user_sgpr_queue_ptr 0
		.amdhsa_user_sgpr_kernarg_segment_ptr 1
		.amdhsa_user_sgpr_dispatch_id 0
		.amdhsa_user_sgpr_kernarg_preload_length 0
		.amdhsa_user_sgpr_kernarg_preload_offset 0
		.amdhsa_user_sgpr_private_segment_size 0
		.amdhsa_uses_dynamic_stack 0
		.amdhsa_enable_private_segment 0
		.amdhsa_system_sgpr_workgroup_id_x 1
		.amdhsa_system_sgpr_workgroup_id_y 0
		.amdhsa_system_sgpr_workgroup_id_z 0
		.amdhsa_system_sgpr_workgroup_info 0
		.amdhsa_system_vgpr_workitem_id 0
		.amdhsa_next_free_vgpr 4
		.amdhsa_next_free_sgpr 6
		.amdhsa_accum_offset 4
		.amdhsa_reserve_vcc 1
		.amdhsa_float_round_mode_32 0
		.amdhsa_float_round_mode_16_64 0
		.amdhsa_float_denorm_mode_32 3
		.amdhsa_float_denorm_mode_16_64 3
		.amdhsa_dx10_clamp 1
		.amdhsa_ieee_mode 1
		.amdhsa_fp16_overflow 0
		.amdhsa_tg_split 0
		.amdhsa_exception_fp_ieee_invalid_op 0
		.amdhsa_exception_fp_denorm_src 0
		.amdhsa_exception_fp_ieee_div_zero 0
		.amdhsa_exception_fp_ieee_overflow 0
		.amdhsa_exception_fp_ieee_underflow 0
		.amdhsa_exception_fp_ieee_inexact 0
		.amdhsa_exception_int_div_zero 0
	.end_amdhsa_kernel
	.section	.text._ZN9rocsparseL19check_row_ptr_arrayILj256EliEEvT1_PKT0_P22rocsparse_data_status_,"axG",@progbits,_ZN9rocsparseL19check_row_ptr_arrayILj256EliEEvT1_PKT0_P22rocsparse_data_status_,comdat
.Lfunc_end6:
	.size	_ZN9rocsparseL19check_row_ptr_arrayILj256EliEEvT1_PKT0_P22rocsparse_data_status_, .Lfunc_end6-_ZN9rocsparseL19check_row_ptr_arrayILj256EliEEvT1_PKT0_P22rocsparse_data_status_
                                        ; -- End function
	.set _ZN9rocsparseL19check_row_ptr_arrayILj256EliEEvT1_PKT0_P22rocsparse_data_status_.num_vgpr, 4
	.set _ZN9rocsparseL19check_row_ptr_arrayILj256EliEEvT1_PKT0_P22rocsparse_data_status_.num_agpr, 0
	.set _ZN9rocsparseL19check_row_ptr_arrayILj256EliEEvT1_PKT0_P22rocsparse_data_status_.numbered_sgpr, 6
	.set _ZN9rocsparseL19check_row_ptr_arrayILj256EliEEvT1_PKT0_P22rocsparse_data_status_.num_named_barrier, 0
	.set _ZN9rocsparseL19check_row_ptr_arrayILj256EliEEvT1_PKT0_P22rocsparse_data_status_.private_seg_size, 0
	.set _ZN9rocsparseL19check_row_ptr_arrayILj256EliEEvT1_PKT0_P22rocsparse_data_status_.uses_vcc, 1
	.set _ZN9rocsparseL19check_row_ptr_arrayILj256EliEEvT1_PKT0_P22rocsparse_data_status_.uses_flat_scratch, 0
	.set _ZN9rocsparseL19check_row_ptr_arrayILj256EliEEvT1_PKT0_P22rocsparse_data_status_.has_dyn_sized_stack, 0
	.set _ZN9rocsparseL19check_row_ptr_arrayILj256EliEEvT1_PKT0_P22rocsparse_data_status_.has_recursion, 0
	.set _ZN9rocsparseL19check_row_ptr_arrayILj256EliEEvT1_PKT0_P22rocsparse_data_status_.has_indirect_call, 0
	.section	.AMDGPU.csdata,"",@progbits
; Kernel info:
; codeLenInByte = 148
; TotalNumSgprs: 12
; NumVgprs: 4
; NumAgprs: 0
; TotalNumVgprs: 4
; ScratchSize: 0
; MemoryBound: 0
; FloatMode: 240
; IeeeMode: 1
; LDSByteSize: 0 bytes/workgroup (compile time only)
; SGPRBlocks: 1
; VGPRBlocks: 0
; NumSGPRsForWavesPerEU: 12
; NumVGPRsForWavesPerEU: 4
; AccumOffset: 4
; Occupancy: 8
; WaveLimiterHint : 0
; COMPUTE_PGM_RSRC2:SCRATCH_EN: 0
; COMPUTE_PGM_RSRC2:USER_SGPR: 2
; COMPUTE_PGM_RSRC2:TRAP_HANDLER: 0
; COMPUTE_PGM_RSRC2:TGID_X_EN: 1
; COMPUTE_PGM_RSRC2:TGID_Y_EN: 0
; COMPUTE_PGM_RSRC2:TGID_Z_EN: 0
; COMPUTE_PGM_RSRC2:TIDIG_COMP_CNT: 0
; COMPUTE_PGM_RSRC3_GFX90A:ACCUM_OFFSET: 0
; COMPUTE_PGM_RSRC3_GFX90A:TG_SPLIT: 0
	.section	.text._ZN9rocsparseL20shift_offsets_kernelILj512EliEEvT1_PKT0_PS2_,"axG",@progbits,_ZN9rocsparseL20shift_offsets_kernelILj512EliEEvT1_PKT0_PS2_,comdat
	.globl	_ZN9rocsparseL20shift_offsets_kernelILj512EliEEvT1_PKT0_PS2_ ; -- Begin function _ZN9rocsparseL20shift_offsets_kernelILj512EliEEvT1_PKT0_PS2_
	.p2align	8
	.type	_ZN9rocsparseL20shift_offsets_kernelILj512EliEEvT1_PKT0_PS2_,@function
_ZN9rocsparseL20shift_offsets_kernelILj512EliEEvT1_PKT0_PS2_: ; @_ZN9rocsparseL20shift_offsets_kernelILj512EliEEvT1_PKT0_PS2_
; %bb.0:
	s_load_dword s3, s[0:1], 0x0
	v_lshl_or_b32 v0, s2, 9, v0
	s_waitcnt lgkmcnt(0)
	v_cmp_gt_i32_e32 vcc, s3, v0
	s_and_saveexec_b64 s[2:3], vcc
	s_cbranch_execz .LBB7_2
; %bb.1:
	s_load_dwordx4 s[4:7], s[0:1], 0x8
	v_ashrrev_i32_e32 v1, 31, v0
	v_lshlrev_b64 v[0:1], 3, v[0:1]
	s_waitcnt lgkmcnt(0)
	v_lshl_add_u64 v[2:3], s[4:5], 0, v[0:1]
	global_load_dwordx2 v[2:3], v[2:3], off
	s_load_dwordx2 s[0:1], s[4:5], 0x0
	v_lshl_add_u64 v[0:1], s[6:7], 0, v[0:1]
	s_waitcnt lgkmcnt(0)
	v_mov_b32_e32 v4, s1
	s_waitcnt vmcnt(0)
	v_subrev_co_u32_e32 v2, vcc, s0, v2
	s_nop 1
	v_subb_co_u32_e32 v3, vcc, v3, v4, vcc
	global_store_dwordx2 v[0:1], v[2:3], off
.LBB7_2:
	s_endpgm
	.section	.rodata,"a",@progbits
	.p2align	6, 0x0
	.amdhsa_kernel _ZN9rocsparseL20shift_offsets_kernelILj512EliEEvT1_PKT0_PS2_
		.amdhsa_group_segment_fixed_size 0
		.amdhsa_private_segment_fixed_size 0
		.amdhsa_kernarg_size 24
		.amdhsa_user_sgpr_count 2
		.amdhsa_user_sgpr_dispatch_ptr 0
		.amdhsa_user_sgpr_queue_ptr 0
		.amdhsa_user_sgpr_kernarg_segment_ptr 1
		.amdhsa_user_sgpr_dispatch_id 0
		.amdhsa_user_sgpr_kernarg_preload_length 0
		.amdhsa_user_sgpr_kernarg_preload_offset 0
		.amdhsa_user_sgpr_private_segment_size 0
		.amdhsa_uses_dynamic_stack 0
		.amdhsa_enable_private_segment 0
		.amdhsa_system_sgpr_workgroup_id_x 1
		.amdhsa_system_sgpr_workgroup_id_y 0
		.amdhsa_system_sgpr_workgroup_id_z 0
		.amdhsa_system_sgpr_workgroup_info 0
		.amdhsa_system_vgpr_workitem_id 0
		.amdhsa_next_free_vgpr 5
		.amdhsa_next_free_sgpr 8
		.amdhsa_accum_offset 8
		.amdhsa_reserve_vcc 1
		.amdhsa_float_round_mode_32 0
		.amdhsa_float_round_mode_16_64 0
		.amdhsa_float_denorm_mode_32 3
		.amdhsa_float_denorm_mode_16_64 3
		.amdhsa_dx10_clamp 1
		.amdhsa_ieee_mode 1
		.amdhsa_fp16_overflow 0
		.amdhsa_tg_split 0
		.amdhsa_exception_fp_ieee_invalid_op 0
		.amdhsa_exception_fp_denorm_src 0
		.amdhsa_exception_fp_ieee_div_zero 0
		.amdhsa_exception_fp_ieee_overflow 0
		.amdhsa_exception_fp_ieee_underflow 0
		.amdhsa_exception_fp_ieee_inexact 0
		.amdhsa_exception_int_div_zero 0
	.end_amdhsa_kernel
	.section	.text._ZN9rocsparseL20shift_offsets_kernelILj512EliEEvT1_PKT0_PS2_,"axG",@progbits,_ZN9rocsparseL20shift_offsets_kernelILj512EliEEvT1_PKT0_PS2_,comdat
.Lfunc_end7:
	.size	_ZN9rocsparseL20shift_offsets_kernelILj512EliEEvT1_PKT0_PS2_, .Lfunc_end7-_ZN9rocsparseL20shift_offsets_kernelILj512EliEEvT1_PKT0_PS2_
                                        ; -- End function
	.set _ZN9rocsparseL20shift_offsets_kernelILj512EliEEvT1_PKT0_PS2_.num_vgpr, 5
	.set _ZN9rocsparseL20shift_offsets_kernelILj512EliEEvT1_PKT0_PS2_.num_agpr, 0
	.set _ZN9rocsparseL20shift_offsets_kernelILj512EliEEvT1_PKT0_PS2_.numbered_sgpr, 8
	.set _ZN9rocsparseL20shift_offsets_kernelILj512EliEEvT1_PKT0_PS2_.num_named_barrier, 0
	.set _ZN9rocsparseL20shift_offsets_kernelILj512EliEEvT1_PKT0_PS2_.private_seg_size, 0
	.set _ZN9rocsparseL20shift_offsets_kernelILj512EliEEvT1_PKT0_PS2_.uses_vcc, 1
	.set _ZN9rocsparseL20shift_offsets_kernelILj512EliEEvT1_PKT0_PS2_.uses_flat_scratch, 0
	.set _ZN9rocsparseL20shift_offsets_kernelILj512EliEEvT1_PKT0_PS2_.has_dyn_sized_stack, 0
	.set _ZN9rocsparseL20shift_offsets_kernelILj512EliEEvT1_PKT0_PS2_.has_recursion, 0
	.set _ZN9rocsparseL20shift_offsets_kernelILj512EliEEvT1_PKT0_PS2_.has_indirect_call, 0
	.section	.AMDGPU.csdata,"",@progbits
; Kernel info:
; codeLenInByte = 124
; TotalNumSgprs: 14
; NumVgprs: 5
; NumAgprs: 0
; TotalNumVgprs: 5
; ScratchSize: 0
; MemoryBound: 0
; FloatMode: 240
; IeeeMode: 1
; LDSByteSize: 0 bytes/workgroup (compile time only)
; SGPRBlocks: 1
; VGPRBlocks: 0
; NumSGPRsForWavesPerEU: 14
; NumVGPRsForWavesPerEU: 5
; AccumOffset: 8
; Occupancy: 8
; WaveLimiterHint : 0
; COMPUTE_PGM_RSRC2:SCRATCH_EN: 0
; COMPUTE_PGM_RSRC2:USER_SGPR: 2
; COMPUTE_PGM_RSRC2:TRAP_HANDLER: 0
; COMPUTE_PGM_RSRC2:TGID_X_EN: 1
; COMPUTE_PGM_RSRC2:TGID_Y_EN: 0
; COMPUTE_PGM_RSRC2:TGID_Z_EN: 0
; COMPUTE_PGM_RSRC2:TIDIG_COMP_CNT: 0
; COMPUTE_PGM_RSRC3_GFX90A:ACCUM_OFFSET: 1
; COMPUTE_PGM_RSRC3_GFX90A:TG_SPLIT: 0
	.section	.text._ZN9rocsparseL25check_matrix_gebsr_deviceILj256EfliEEv20rocsparse_direction_T2_S2_T1_S2_S2_PKT0_PKS3_PKS2_SA_21rocsparse_index_base_22rocsparse_matrix_type_20rocsparse_fill_mode_23rocsparse_storage_mode_P22rocsparse_data_status_,"axG",@progbits,_ZN9rocsparseL25check_matrix_gebsr_deviceILj256EfliEEv20rocsparse_direction_T2_S2_T1_S2_S2_PKT0_PKS3_PKS2_SA_21rocsparse_index_base_22rocsparse_matrix_type_20rocsparse_fill_mode_23rocsparse_storage_mode_P22rocsparse_data_status_,comdat
	.globl	_ZN9rocsparseL25check_matrix_gebsr_deviceILj256EfliEEv20rocsparse_direction_T2_S2_T1_S2_S2_PKT0_PKS3_PKS2_SA_21rocsparse_index_base_22rocsparse_matrix_type_20rocsparse_fill_mode_23rocsparse_storage_mode_P22rocsparse_data_status_ ; -- Begin function _ZN9rocsparseL25check_matrix_gebsr_deviceILj256EfliEEv20rocsparse_direction_T2_S2_T1_S2_S2_PKT0_PKS3_PKS2_SA_21rocsparse_index_base_22rocsparse_matrix_type_20rocsparse_fill_mode_23rocsparse_storage_mode_P22rocsparse_data_status_
	.p2align	8
	.type	_ZN9rocsparseL25check_matrix_gebsr_deviceILj256EfliEEv20rocsparse_direction_T2_S2_T1_S2_S2_PKT0_PKS3_PKS2_SA_21rocsparse_index_base_22rocsparse_matrix_type_20rocsparse_fill_mode_23rocsparse_storage_mode_P22rocsparse_data_status_,@function
_ZN9rocsparseL25check_matrix_gebsr_deviceILj256EfliEEv20rocsparse_direction_T2_S2_T1_S2_S2_PKT0_PKS3_PKS2_SA_21rocsparse_index_base_22rocsparse_matrix_type_20rocsparse_fill_mode_23rocsparse_storage_mode_P22rocsparse_data_status_: ; @_ZN9rocsparseL25check_matrix_gebsr_deviceILj256EfliEEv20rocsparse_direction_T2_S2_T1_S2_S2_PKT0_PKS3_PKS2_SA_21rocsparse_index_base_22rocsparse_matrix_type_20rocsparse_fill_mode_23rocsparse_storage_mode_P22rocsparse_data_status_
; %bb.0:
	s_load_dwordx4 s[16:19], s[0:1], 0x0
	v_mov_b32_e32 v5, 0
	v_lshl_or_b32 v4, s2, 8, v0
	s_waitcnt lgkmcnt(0)
	s_ashr_i32 s3, s17, 31
	s_mov_b32 s2, s17
	v_cmp_gt_i64_e32 vcc, s[2:3], v[4:5]
	s_and_saveexec_b64 s[2:3], vcc
	s_cbranch_execz .LBB8_60
; %bb.1:
	s_load_dwordx2 s[2:3], s[0:1], 0x28
	v_mov_b32_e32 v16, 3
	s_mov_b64 s[8:9], -1
	s_mov_b64 s[6:7], 0
	s_waitcnt lgkmcnt(0)
	v_lshl_add_u64 v[0:1], v[4:5], 3, s[2:3]
	global_load_dwordx4 v[0:3], v[0:1], off
	s_load_dwordx2 s[2:3], s[2:3], 0x0
	s_waitcnt lgkmcnt(0)
	v_mov_b32_e32 v5, s3
	s_waitcnt vmcnt(0)
	v_subrev_co_u32_e32 v6, vcc, s2, v0
	s_nop 1
	v_subb_co_u32_e32 v7, vcc, v1, v5, vcc
	v_subrev_co_u32_e32 v8, vcc, s2, v2
	v_cmp_lt_i64_e64 s[4:5], v[2:3], v[0:1]
	s_nop 0
	v_subb_co_u32_e32 v9, vcc, v3, v5, vcc
	v_cmp_gt_i64_e64 s[2:3], 0, v[8:9]
	s_or_b64 s[2:3], s[2:3], s[4:5]
	v_cmp_lt_i64_e32 vcc, -1, v[6:7]
	s_xor_b64 s[2:3], s[2:3], -1
	s_and_b64 s[2:3], vcc, s[2:3]
	s_and_saveexec_b64 s[24:25], s[2:3]
	s_cbranch_execz .LBB8_58
; %bb.2:
	v_cmp_lt_i64_e32 vcc, v[0:1], v[2:3]
	v_mov_b32_e32 v16, 3
	s_and_saveexec_b64 s[26:27], vcc
	s_cbranch_execz .LBB8_57
; %bb.3:
	s_load_dwordx4 s[20:23], s[0:1], 0x18
	s_load_dwordx8 s[8:15], s[0:1], 0x30
	s_cmp_lg_u32 s16, 0
	s_cselect_b64 s[28:29], -1, 0
	s_mov_b32 s17, 0
	s_waitcnt lgkmcnt(0)
	s_cmp_gt_i32 s21, 0
	s_cselect_b64 s[30:31], -1, 0
	s_cmp_gt_i32 s20, 0
	s_cselect_b64 s[34:35], -1, 0
	s_cmp_lg_u32 s13, 0
	s_mul_hi_i32 s3, s21, s20
	s_mul_i32 s2, s21, s20
	s_cselect_b64 s[36:37], -1, 0
	s_cmp_lg_u32 s14, 0
	v_mul_lo_u32 v2, s3, v6
	v_mul_lo_u32 v3, s2, v7
	v_mad_u64_u32 v[0:1], s[4:5], s2, v6, 0
	s_cselect_b64 s[38:39], -1, 0
	s_cmp_lg_u32 s15, 0
	v_add3_u32 v1, v1, v3, v2
	v_cndmask_b32_e64 v2, 0, 1, s[34:35]
	s_cselect_b64 s[14:15], -1, 0
	v_lshl_add_u64 v[0:1], v[0:1], 2, s[22:23]
	s_lshl_b64 s[40:41], s[2:3], 2
	s_mov_b64 s[22:23], 0
	v_cmp_ne_u32_e64 s[2:3], 1, v2
	s_mov_b32 s13, 0x7f800000
	v_mov_b64_e32 v[2:3], v[6:7]
                                        ; implicit-def: $sgpr42_sgpr43
                                        ; implicit-def: $sgpr44_sgpr45
                                        ; implicit-def: $sgpr46_sgpr47
	s_branch .LBB8_9
.LBB8_4:                                ;   in Loop: Header=BB8_9 Depth=1
	s_or_b64 exec, exec, s[58:59]
	s_orn2_b64 s[58:59], s[6:7], exec
	s_orn2_b64 s[4:5], s[4:5], exec
.LBB8_5:                                ;   in Loop: Header=BB8_9 Depth=1
	s_or_b64 exec, exec, s[56:57]
	s_orn2_b64 s[56:57], s[58:59], exec
	s_orn2_b64 s[6:7], s[4:5], exec
.LBB8_6:                                ;   in Loop: Header=BB8_9 Depth=1
	s_or_b64 exec, exec, s[54:55]
	s_orn2_b64 s[54:55], s[56:57], exec
	s_orn2_b64 s[4:5], s[6:7], exec
.LBB8_7:                                ;   in Loop: Header=BB8_9 Depth=1
	s_or_b64 exec, exec, s[50:51]
	s_andn2_b64 s[6:7], s[46:47], exec
	s_and_b64 s[46:47], s[54:55], exec
	s_or_b64 s[46:47], s[6:7], s[46:47]
	s_andn2_b64 s[6:7], s[44:45], exec
	s_and_b64 s[4:5], s[4:5], exec
	s_or_b64 s[44:45], s[6:7], s[4:5]
.LBB8_8:                                ;   in Loop: Header=BB8_9 Depth=1
	s_or_b64 exec, exec, s[48:49]
	s_and_b64 s[4:5], exec, s[44:45]
	s_or_b64 s[22:23], s[4:5], s[22:23]
	s_andn2_b64 s[4:5], s[42:43], exec
	s_and_b64 s[6:7], s[46:47], exec
	s_or_b64 s[42:43], s[4:5], s[6:7]
	s_andn2_b64 exec, exec, s[22:23]
	s_cbranch_execz .LBB8_56
.LBB8_9:                                ; =>This Loop Header: Depth=1
                                        ;     Child Loop BB8_33 Depth 2
                                        ;       Child Loop BB8_37 Depth 3
                                        ;     Child Loop BB8_17 Depth 2
                                        ;       Child Loop BB8_21 Depth 3
	v_lshl_add_u64 v[10:11], v[2:3], 2, s[8:9]
	global_load_dword v5, v[10:11], off
	v_mov_b32_e32 v16, 4
	s_or_b64 s[46:47], s[46:47], exec
	s_or_b64 s[44:45], s[44:45], exec
	s_waitcnt vmcnt(0)
	v_subrev_u32_e32 v14, s12, v5
	v_cmp_lt_i32_e32 vcc, -1, v14
	v_cmp_gt_i32_e64 s[4:5], s18, v14
	s_and_b64 s[4:5], vcc, s[4:5]
	s_and_saveexec_b64 s[48:49], s[4:5]
	s_cbranch_execz .LBB8_8
; %bb.10:                               ;   in Loop: Header=BB8_9 Depth=1
	v_cmp_le_i64_e64 s[52:53], v[2:3], v[6:7]
	v_cmp_gt_i64_e32 vcc, v[2:3], v[6:7]
	v_mov_b32_e32 v16, 4
	s_mov_b64 s[6:7], s[52:53]
	s_and_saveexec_b64 s[50:51], vcc
	s_cbranch_execz .LBB8_12
; %bb.11:                               ;   in Loop: Header=BB8_9 Depth=1
	v_lshl_add_u64 v[12:13], v[2:3], 2, s[10:11]
	global_load_dwordx2 v[12:13], v[12:13], off offset:-4
	v_mov_b32_e32 v16, 5
	s_waitcnt vmcnt(0)
	v_subrev_u32_e32 v15, s12, v12
	v_cmp_lt_i32_e64 s[4:5], -1, v15
	v_cmp_gt_i32_e64 s[6:7], s18, v15
	s_and_b64 s[4:5], s[4:5], s[6:7]
	v_cmp_ne_u32_e32 vcc, v13, v12
	s_xor_b64 s[4:5], s[4:5], -1
	s_or_b64 s[4:5], vcc, s[4:5]
	s_andn2_b64 s[6:7], s[52:53], exec
	s_and_b64 s[4:5], s[4:5], exec
	s_or_b64 s[6:7], s[6:7], s[4:5]
.LBB8_12:                               ;   in Loop: Header=BB8_9 Depth=1
	s_or_b64 exec, exec, s[50:51]
	s_mov_b64 s[4:5], -1
	s_mov_b64 s[54:55], -1
	s_and_saveexec_b64 s[50:51], s[6:7]
	s_cbranch_execz .LBB8_7
; %bb.13:                               ;   in Loop: Header=BB8_9 Depth=1
	s_and_b64 vcc, exec, s[28:29]
	s_cbranch_vccz .LBB8_29
; %bb.14:                               ;   in Loop: Header=BB8_9 Depth=1
	s_and_b64 vcc, exec, s[30:31]
	s_cbranch_vccz .LBB8_28
; %bb.15:                               ;   in Loop: Header=BB8_9 Depth=1
	s_mov_b32 s16, 0
	s_mov_b64 s[6:7], 0
	s_mov_b32 s19, s16
                                        ; implicit-def: $sgpr4_sgpr5
	s_branch .LBB8_17
.LBB8_16:                               ;   in Loop: Header=BB8_17 Depth=2
	s_or_b64 exec, exec, s[60:61]
	s_xor_b64 s[56:57], s[58:59], -1
	s_and_b64 s[54:55], exec, s[54:55]
	s_or_b64 s[6:7], s[54:55], s[6:7]
	s_andn2_b64 s[4:5], s[4:5], exec
	s_and_b64 s[54:55], s[56:57], exec
	s_or_b64 s[4:5], s[4:5], s[54:55]
	s_andn2_b64 exec, exec, s[6:7]
	s_cbranch_execz .LBB8_27
.LBB8_17:                               ;   Parent Loop BB8_9 Depth=1
                                        ; =>  This Loop Header: Depth=2
                                        ;       Child Loop BB8_21 Depth 3
	s_mov_b64 s[54:55], -1
	s_and_b64 vcc, exec, s[2:3]
	s_mov_b64 s[56:57], -1
                                        ; implicit-def: $vgpr16
	s_cbranch_vccnz .LBB8_25
; %bb.18:                               ;   in Loop: Header=BB8_17 Depth=2
	v_lshl_add_u64 v[12:13], s[16:17], 2, v[0:1]
	s_mov_b64 s[58:59], 0
	s_mov_b32 s33, s20
                                        ; implicit-def: $sgpr56_sgpr57
                                        ; implicit-def: $sgpr60_sgpr61
                                        ; implicit-def: $sgpr62_sgpr63
	s_branch .LBB8_21
.LBB8_19:                               ;   in Loop: Header=BB8_21 Depth=3
	s_or_b64 exec, exec, s[70:71]
	s_andn2_b64 s[62:63], s[62:63], exec
	s_and_b64 s[68:69], s[68:69], exec
	s_andn2_b64 s[60:61], s[60:61], exec
	s_and_b64 s[66:67], s[66:67], exec
	v_mov_b32_e32 v16, 2
	s_or_b64 s[62:63], s[62:63], s[68:69]
	s_or_b64 s[60:61], s[60:61], s[66:67]
.LBB8_20:                               ;   in Loop: Header=BB8_21 Depth=3
	s_or_b64 exec, exec, s[64:65]
	s_xor_b64 s[64:65], s[62:63], -1
	s_and_b64 s[66:67], exec, s[60:61]
	s_or_b64 s[58:59], s[66:67], s[58:59]
	s_andn2_b64 s[56:57], s[56:57], exec
	s_and_b64 s[64:65], s[64:65], exec
	s_or_b64 s[56:57], s[56:57], s[64:65]
	s_andn2_b64 exec, exec, s[58:59]
	s_cbranch_execz .LBB8_24
.LBB8_21:                               ;   Parent Loop BB8_9 Depth=1
                                        ;     Parent Loop BB8_17 Depth=2
                                        ; =>    This Inner Loop Header: Depth=3
	global_load_dword v15, v[12:13], off
	v_mov_b32_e32 v16, 1
	s_or_b64 s[62:63], s[62:63], exec
	s_or_b64 s[60:61], s[60:61], exec
	s_waitcnt vmcnt(0)
	v_cmp_neq_f32_e32 vcc, s13, v15
	s_and_saveexec_b64 s[64:65], vcc
	s_xor_b64 s[64:65], exec, s[64:65]
	s_cbranch_execz .LBB8_20
; %bb.22:                               ;   in Loop: Header=BB8_21 Depth=3
	v_cmp_o_f32_e32 vcc, v15, v15
	s_mov_b64 s[66:67], -1
	s_mov_b64 s[68:69], -1
	s_and_saveexec_b64 s[70:71], vcc
	s_cbranch_execz .LBB8_19
; %bb.23:                               ;   in Loop: Header=BB8_21 Depth=3
	s_add_i32 s33, s33, -1
	s_cmp_eq_u32 s33, 0
	s_cselect_b64 s[66:67], -1, 0
	v_lshl_add_u64 v[12:13], v[12:13], 0, 4
	s_xor_b64 s[68:69], exec, -1
	s_orn2_b64 s[66:67], s[66:67], exec
	s_branch .LBB8_19
.LBB8_24:                               ;   in Loop: Header=BB8_17 Depth=2
	s_or_b64 exec, exec, s[58:59]
.LBB8_25:                               ;   in Loop: Header=BB8_17 Depth=2
	s_mov_b64 s[58:59], -1
	s_and_saveexec_b64 s[60:61], s[56:57]
	s_cbranch_execz .LBB8_16
; %bb.26:                               ;   in Loop: Header=BB8_17 Depth=2
	s_add_i32 s19, s19, 1
	s_add_i32 s16, s16, s20
	s_cmp_eq_u32 s19, s21
	s_cselect_b64 s[54:55], -1, 0
	s_xor_b64 s[58:59], exec, -1
	s_orn2_b64 s[54:55], s[54:55], exec
	s_branch .LBB8_16
.LBB8_27:                               ;   in Loop: Header=BB8_9 Depth=1
	s_or_b64 exec, exec, s[6:7]
.LBB8_28:                               ;   in Loop: Header=BB8_9 Depth=1
	s_branch .LBB8_44
.LBB8_29:                               ;   in Loop: Header=BB8_9 Depth=1
	s_mov_b64 s[4:5], 0
	s_cbranch_execz .LBB8_44
; %bb.30:                               ;   in Loop: Header=BB8_9 Depth=1
	s_and_b64 vcc, exec, s[34:35]
	s_cbranch_vccz .LBB8_54
; %bb.31:                               ;   in Loop: Header=BB8_9 Depth=1
	s_mov_b32 s16, 0
	s_mov_b64 s[6:7], 0
	s_mov_b32 s19, s16
                                        ; implicit-def: $sgpr4_sgpr5
	s_branch .LBB8_33
.LBB8_32:                               ;   in Loop: Header=BB8_33 Depth=2
	s_or_b64 exec, exec, s[60:61]
	s_xor_b64 s[56:57], s[58:59], -1
	s_and_b64 s[54:55], exec, s[54:55]
	s_or_b64 s[6:7], s[54:55], s[6:7]
	s_andn2_b64 s[4:5], s[4:5], exec
	s_and_b64 s[54:55], s[56:57], exec
	s_or_b64 s[4:5], s[4:5], s[54:55]
	s_andn2_b64 exec, exec, s[6:7]
	s_cbranch_execz .LBB8_43
.LBB8_33:                               ;   Parent Loop BB8_9 Depth=1
                                        ; =>  This Loop Header: Depth=2
                                        ;       Child Loop BB8_37 Depth 3
	s_mov_b64 s[54:55], -1
	s_andn2_b64 vcc, exec, s[30:31]
	s_mov_b64 s[56:57], -1
                                        ; implicit-def: $vgpr16
	s_cbranch_vccnz .LBB8_41
; %bb.34:                               ;   in Loop: Header=BB8_33 Depth=2
	v_lshl_add_u64 v[12:13], s[16:17], 2, v[0:1]
	s_mov_b64 s[58:59], 0
	s_mov_b32 s33, s21
                                        ; implicit-def: $sgpr56_sgpr57
                                        ; implicit-def: $sgpr60_sgpr61
                                        ; implicit-def: $sgpr62_sgpr63
	s_branch .LBB8_37
.LBB8_35:                               ;   in Loop: Header=BB8_37 Depth=3
	s_or_b64 exec, exec, s[70:71]
	s_andn2_b64 s[62:63], s[62:63], exec
	s_and_b64 s[68:69], s[68:69], exec
	s_andn2_b64 s[60:61], s[60:61], exec
	s_and_b64 s[66:67], s[66:67], exec
	v_mov_b32_e32 v16, 2
	s_or_b64 s[62:63], s[62:63], s[68:69]
	s_or_b64 s[60:61], s[60:61], s[66:67]
.LBB8_36:                               ;   in Loop: Header=BB8_37 Depth=3
	s_or_b64 exec, exec, s[64:65]
	s_xor_b64 s[64:65], s[62:63], -1
	s_and_b64 s[66:67], exec, s[60:61]
	s_or_b64 s[58:59], s[66:67], s[58:59]
	s_andn2_b64 s[56:57], s[56:57], exec
	s_and_b64 s[64:65], s[64:65], exec
	s_or_b64 s[56:57], s[56:57], s[64:65]
	s_andn2_b64 exec, exec, s[58:59]
	s_cbranch_execz .LBB8_40
.LBB8_37:                               ;   Parent Loop BB8_9 Depth=1
                                        ;     Parent Loop BB8_33 Depth=2
                                        ; =>    This Inner Loop Header: Depth=3
	global_load_dword v15, v[12:13], off
	v_mov_b32_e32 v16, 1
	s_or_b64 s[62:63], s[62:63], exec
	s_or_b64 s[60:61], s[60:61], exec
	s_waitcnt vmcnt(0)
	v_cmp_neq_f32_e32 vcc, s13, v15
	s_and_saveexec_b64 s[64:65], vcc
	s_xor_b64 s[64:65], exec, s[64:65]
	s_cbranch_execz .LBB8_36
; %bb.38:                               ;   in Loop: Header=BB8_37 Depth=3
	v_cmp_o_f32_e32 vcc, v15, v15
	s_mov_b64 s[66:67], -1
	s_mov_b64 s[68:69], -1
	s_and_saveexec_b64 s[70:71], vcc
	s_cbranch_execz .LBB8_35
; %bb.39:                               ;   in Loop: Header=BB8_37 Depth=3
	s_add_i32 s33, s33, -1
	s_cmp_eq_u32 s33, 0
	s_cselect_b64 s[66:67], -1, 0
	v_lshl_add_u64 v[12:13], v[12:13], 0, 4
	s_xor_b64 s[68:69], exec, -1
	s_orn2_b64 s[66:67], s[66:67], exec
	s_branch .LBB8_35
.LBB8_40:                               ;   in Loop: Header=BB8_33 Depth=2
	s_or_b64 exec, exec, s[58:59]
.LBB8_41:                               ;   in Loop: Header=BB8_33 Depth=2
	s_mov_b64 s[58:59], -1
	s_and_saveexec_b64 s[60:61], s[56:57]
	s_cbranch_execz .LBB8_32
; %bb.42:                               ;   in Loop: Header=BB8_33 Depth=2
	s_add_i32 s19, s19, 1
	s_add_i32 s16, s16, s21
	s_cmp_eq_u32 s19, s20
	s_cselect_b64 s[54:55], -1, 0
	s_xor_b64 s[58:59], exec, -1
	s_orn2_b64 s[54:55], s[54:55], exec
	s_branch .LBB8_32
.LBB8_43:                               ;   in Loop: Header=BB8_9 Depth=1
	s_or_b64 exec, exec, s[6:7]
.LBB8_44:                               ;   in Loop: Header=BB8_9 Depth=1
	s_mov_b64 s[6:7], -1
	s_mov_b64 s[56:57], -1
	s_and_saveexec_b64 s[54:55], s[4:5]
	s_cbranch_execz .LBB8_6
.LBB8_45:                               ;   in Loop: Header=BB8_9 Depth=1
	s_mov_b64 s[4:5], -1
	s_and_b64 vcc, exec, s[36:37]
	s_cbranch_vccz .LBB8_49
; %bb.46:                               ;   in Loop: Header=BB8_9 Depth=1
	s_and_b64 vcc, exec, s[38:39]
	s_cbranch_vccz .LBB8_55
; %bb.47:                               ;   in Loop: Header=BB8_9 Depth=1
	v_cmp_le_u32_e32 vcc, v4, v14
	v_mov_b32_e32 v16, 7
	s_and_b64 s[6:7], vcc, exec
	s_cbranch_execnz .LBB8_49
.LBB8_48:                               ;   in Loop: Header=BB8_9 Depth=1
	v_cmp_ge_u32_e32 vcc, v4, v14
	s_andn2_b64 s[6:7], s[6:7], exec
	s_and_b64 s[56:57], vcc, exec
	v_mov_b32_e32 v16, 7
	s_or_b64 s[6:7], s[6:7], s[56:57]
.LBB8_49:                               ;   in Loop: Header=BB8_9 Depth=1
	s_mov_b64 s[58:59], -1
	s_and_saveexec_b64 s[56:57], s[6:7]
	s_cbranch_execz .LBB8_5
; %bb.50:                               ;   in Loop: Header=BB8_9 Depth=1
	s_or_b64 s[52:53], s[14:15], s[52:53]
	s_xor_b64 s[4:5], s[52:53], -1
	s_and_saveexec_b64 s[58:59], s[4:5]
	s_cbranch_execz .LBB8_52
; %bb.51:                               ;   in Loop: Header=BB8_9 Depth=1
	global_load_dword v10, v[10:11], off offset:-4
	v_mov_b32_e32 v16, 6
	s_waitcnt vmcnt(0)
	v_subrev_u32_e32 v11, s12, v10
	v_cmp_lt_i32_e64 s[4:5], -1, v11
	v_cmp_gt_i32_e64 s[6:7], s18, v11
	s_and_b64 s[4:5], s[4:5], s[6:7]
	v_cmp_gt_i32_e32 vcc, v5, v10
	s_xor_b64 s[4:5], s[4:5], -1
	s_or_b64 s[4:5], vcc, s[4:5]
	s_andn2_b64 s[6:7], s[52:53], exec
	s_and_b64 s[4:5], s[4:5], exec
	s_or_b64 s[52:53], s[6:7], s[4:5]
.LBB8_52:                               ;   in Loop: Header=BB8_9 Depth=1
	s_or_b64 exec, exec, s[58:59]
	s_mov_b64 s[4:5], -1
	s_mov_b64 s[6:7], -1
	s_and_saveexec_b64 s[58:59], s[52:53]
	s_cbranch_execz .LBB8_4
; %bb.53:                               ;   in Loop: Header=BB8_9 Depth=1
	v_lshl_add_u64 v[2:3], v[2:3], 0, 1
	v_cmp_ge_i64_e32 vcc, v[2:3], v[8:9]
	v_lshl_add_u64 v[0:1], v[0:1], 0, s[40:41]
	s_xor_b64 s[6:7], exec, -1
	s_orn2_b64 s[4:5], vcc, exec
	s_branch .LBB8_4
.LBB8_54:                               ;   in Loop: Header=BB8_9 Depth=1
	s_mov_b64 s[4:5], -1
	s_mov_b64 s[6:7], -1
	;; [unrolled: 1-line block ×3, first 2 shown]
	s_and_saveexec_b64 s[54:55], s[4:5]
	s_cbranch_execz .LBB8_6
	s_branch .LBB8_45
.LBB8_55:                               ;   in Loop: Header=BB8_9 Depth=1
	s_mov_b64 s[6:7], 0
	s_andn2_b64 vcc, exec, s[56:57]
	s_cbranch_vccz .LBB8_48
	s_branch .LBB8_49
.LBB8_56:
	s_or_b64 exec, exec, s[22:23]
	s_and_b64 s[6:7], s[42:43], exec
.LBB8_57:
	s_or_b64 exec, exec, s[26:27]
	s_orn2_b64 s[8:9], s[6:7], exec
.LBB8_58:
	s_or_b64 exec, exec, s[24:25]
	s_and_b64 exec, exec, s[8:9]
	s_cbranch_execz .LBB8_60
; %bb.59:
	s_load_dwordx2 s[0:1], s[0:1], 0x50
	v_mov_b32_e32 v0, 0
	s_waitcnt lgkmcnt(0)
	global_store_dword v0, v16, s[0:1]
.LBB8_60:
	s_endpgm
	.section	.rodata,"a",@progbits
	.p2align	6, 0x0
	.amdhsa_kernel _ZN9rocsparseL25check_matrix_gebsr_deviceILj256EfliEEv20rocsparse_direction_T2_S2_T1_S2_S2_PKT0_PKS3_PKS2_SA_21rocsparse_index_base_22rocsparse_matrix_type_20rocsparse_fill_mode_23rocsparse_storage_mode_P22rocsparse_data_status_
		.amdhsa_group_segment_fixed_size 0
		.amdhsa_private_segment_fixed_size 0
		.amdhsa_kernarg_size 88
		.amdhsa_user_sgpr_count 2
		.amdhsa_user_sgpr_dispatch_ptr 0
		.amdhsa_user_sgpr_queue_ptr 0
		.amdhsa_user_sgpr_kernarg_segment_ptr 1
		.amdhsa_user_sgpr_dispatch_id 0
		.amdhsa_user_sgpr_kernarg_preload_length 0
		.amdhsa_user_sgpr_kernarg_preload_offset 0
		.amdhsa_user_sgpr_private_segment_size 0
		.amdhsa_uses_dynamic_stack 0
		.amdhsa_enable_private_segment 0
		.amdhsa_system_sgpr_workgroup_id_x 1
		.amdhsa_system_sgpr_workgroup_id_y 0
		.amdhsa_system_sgpr_workgroup_id_z 0
		.amdhsa_system_sgpr_workgroup_info 0
		.amdhsa_system_vgpr_workitem_id 0
		.amdhsa_next_free_vgpr 17
		.amdhsa_next_free_sgpr 72
		.amdhsa_accum_offset 20
		.amdhsa_reserve_vcc 1
		.amdhsa_float_round_mode_32 0
		.amdhsa_float_round_mode_16_64 0
		.amdhsa_float_denorm_mode_32 3
		.amdhsa_float_denorm_mode_16_64 3
		.amdhsa_dx10_clamp 1
		.amdhsa_ieee_mode 1
		.amdhsa_fp16_overflow 0
		.amdhsa_tg_split 0
		.amdhsa_exception_fp_ieee_invalid_op 0
		.amdhsa_exception_fp_denorm_src 0
		.amdhsa_exception_fp_ieee_div_zero 0
		.amdhsa_exception_fp_ieee_overflow 0
		.amdhsa_exception_fp_ieee_underflow 0
		.amdhsa_exception_fp_ieee_inexact 0
		.amdhsa_exception_int_div_zero 0
	.end_amdhsa_kernel
	.section	.text._ZN9rocsparseL25check_matrix_gebsr_deviceILj256EfliEEv20rocsparse_direction_T2_S2_T1_S2_S2_PKT0_PKS3_PKS2_SA_21rocsparse_index_base_22rocsparse_matrix_type_20rocsparse_fill_mode_23rocsparse_storage_mode_P22rocsparse_data_status_,"axG",@progbits,_ZN9rocsparseL25check_matrix_gebsr_deviceILj256EfliEEv20rocsparse_direction_T2_S2_T1_S2_S2_PKT0_PKS3_PKS2_SA_21rocsparse_index_base_22rocsparse_matrix_type_20rocsparse_fill_mode_23rocsparse_storage_mode_P22rocsparse_data_status_,comdat
.Lfunc_end8:
	.size	_ZN9rocsparseL25check_matrix_gebsr_deviceILj256EfliEEv20rocsparse_direction_T2_S2_T1_S2_S2_PKT0_PKS3_PKS2_SA_21rocsparse_index_base_22rocsparse_matrix_type_20rocsparse_fill_mode_23rocsparse_storage_mode_P22rocsparse_data_status_, .Lfunc_end8-_ZN9rocsparseL25check_matrix_gebsr_deviceILj256EfliEEv20rocsparse_direction_T2_S2_T1_S2_S2_PKT0_PKS3_PKS2_SA_21rocsparse_index_base_22rocsparse_matrix_type_20rocsparse_fill_mode_23rocsparse_storage_mode_P22rocsparse_data_status_
                                        ; -- End function
	.set _ZN9rocsparseL25check_matrix_gebsr_deviceILj256EfliEEv20rocsparse_direction_T2_S2_T1_S2_S2_PKT0_PKS3_PKS2_SA_21rocsparse_index_base_22rocsparse_matrix_type_20rocsparse_fill_mode_23rocsparse_storage_mode_P22rocsparse_data_status_.num_vgpr, 17
	.set _ZN9rocsparseL25check_matrix_gebsr_deviceILj256EfliEEv20rocsparse_direction_T2_S2_T1_S2_S2_PKT0_PKS3_PKS2_SA_21rocsparse_index_base_22rocsparse_matrix_type_20rocsparse_fill_mode_23rocsparse_storage_mode_P22rocsparse_data_status_.num_agpr, 0
	.set _ZN9rocsparseL25check_matrix_gebsr_deviceILj256EfliEEv20rocsparse_direction_T2_S2_T1_S2_S2_PKT0_PKS3_PKS2_SA_21rocsparse_index_base_22rocsparse_matrix_type_20rocsparse_fill_mode_23rocsparse_storage_mode_P22rocsparse_data_status_.numbered_sgpr, 72
	.set _ZN9rocsparseL25check_matrix_gebsr_deviceILj256EfliEEv20rocsparse_direction_T2_S2_T1_S2_S2_PKT0_PKS3_PKS2_SA_21rocsparse_index_base_22rocsparse_matrix_type_20rocsparse_fill_mode_23rocsparse_storage_mode_P22rocsparse_data_status_.num_named_barrier, 0
	.set _ZN9rocsparseL25check_matrix_gebsr_deviceILj256EfliEEv20rocsparse_direction_T2_S2_T1_S2_S2_PKT0_PKS3_PKS2_SA_21rocsparse_index_base_22rocsparse_matrix_type_20rocsparse_fill_mode_23rocsparse_storage_mode_P22rocsparse_data_status_.private_seg_size, 0
	.set _ZN9rocsparseL25check_matrix_gebsr_deviceILj256EfliEEv20rocsparse_direction_T2_S2_T1_S2_S2_PKT0_PKS3_PKS2_SA_21rocsparse_index_base_22rocsparse_matrix_type_20rocsparse_fill_mode_23rocsparse_storage_mode_P22rocsparse_data_status_.uses_vcc, 1
	.set _ZN9rocsparseL25check_matrix_gebsr_deviceILj256EfliEEv20rocsparse_direction_T2_S2_T1_S2_S2_PKT0_PKS3_PKS2_SA_21rocsparse_index_base_22rocsparse_matrix_type_20rocsparse_fill_mode_23rocsparse_storage_mode_P22rocsparse_data_status_.uses_flat_scratch, 0
	.set _ZN9rocsparseL25check_matrix_gebsr_deviceILj256EfliEEv20rocsparse_direction_T2_S2_T1_S2_S2_PKT0_PKS3_PKS2_SA_21rocsparse_index_base_22rocsparse_matrix_type_20rocsparse_fill_mode_23rocsparse_storage_mode_P22rocsparse_data_status_.has_dyn_sized_stack, 0
	.set _ZN9rocsparseL25check_matrix_gebsr_deviceILj256EfliEEv20rocsparse_direction_T2_S2_T1_S2_S2_PKT0_PKS3_PKS2_SA_21rocsparse_index_base_22rocsparse_matrix_type_20rocsparse_fill_mode_23rocsparse_storage_mode_P22rocsparse_data_status_.has_recursion, 0
	.set _ZN9rocsparseL25check_matrix_gebsr_deviceILj256EfliEEv20rocsparse_direction_T2_S2_T1_S2_S2_PKT0_PKS3_PKS2_SA_21rocsparse_index_base_22rocsparse_matrix_type_20rocsparse_fill_mode_23rocsparse_storage_mode_P22rocsparse_data_status_.has_indirect_call, 0
	.section	.AMDGPU.csdata,"",@progbits
; Kernel info:
; codeLenInByte = 1560
; TotalNumSgprs: 78
; NumVgprs: 17
; NumAgprs: 0
; TotalNumVgprs: 17
; ScratchSize: 0
; MemoryBound: 0
; FloatMode: 240
; IeeeMode: 1
; LDSByteSize: 0 bytes/workgroup (compile time only)
; SGPRBlocks: 9
; VGPRBlocks: 2
; NumSGPRsForWavesPerEU: 78
; NumVGPRsForWavesPerEU: 17
; AccumOffset: 20
; Occupancy: 8
; WaveLimiterHint : 0
; COMPUTE_PGM_RSRC2:SCRATCH_EN: 0
; COMPUTE_PGM_RSRC2:USER_SGPR: 2
; COMPUTE_PGM_RSRC2:TRAP_HANDLER: 0
; COMPUTE_PGM_RSRC2:TGID_X_EN: 1
; COMPUTE_PGM_RSRC2:TGID_Y_EN: 0
; COMPUTE_PGM_RSRC2:TGID_Z_EN: 0
; COMPUTE_PGM_RSRC2:TIDIG_COMP_CNT: 0
; COMPUTE_PGM_RSRC3_GFX90A:ACCUM_OFFSET: 4
; COMPUTE_PGM_RSRC3_GFX90A:TG_SPLIT: 0
	.section	.text._ZN9rocsparseL25check_matrix_gebsr_deviceILj256EdliEEv20rocsparse_direction_T2_S2_T1_S2_S2_PKT0_PKS3_PKS2_SA_21rocsparse_index_base_22rocsparse_matrix_type_20rocsparse_fill_mode_23rocsparse_storage_mode_P22rocsparse_data_status_,"axG",@progbits,_ZN9rocsparseL25check_matrix_gebsr_deviceILj256EdliEEv20rocsparse_direction_T2_S2_T1_S2_S2_PKT0_PKS3_PKS2_SA_21rocsparse_index_base_22rocsparse_matrix_type_20rocsparse_fill_mode_23rocsparse_storage_mode_P22rocsparse_data_status_,comdat
	.globl	_ZN9rocsparseL25check_matrix_gebsr_deviceILj256EdliEEv20rocsparse_direction_T2_S2_T1_S2_S2_PKT0_PKS3_PKS2_SA_21rocsparse_index_base_22rocsparse_matrix_type_20rocsparse_fill_mode_23rocsparse_storage_mode_P22rocsparse_data_status_ ; -- Begin function _ZN9rocsparseL25check_matrix_gebsr_deviceILj256EdliEEv20rocsparse_direction_T2_S2_T1_S2_S2_PKT0_PKS3_PKS2_SA_21rocsparse_index_base_22rocsparse_matrix_type_20rocsparse_fill_mode_23rocsparse_storage_mode_P22rocsparse_data_status_
	.p2align	8
	.type	_ZN9rocsparseL25check_matrix_gebsr_deviceILj256EdliEEv20rocsparse_direction_T2_S2_T1_S2_S2_PKT0_PKS3_PKS2_SA_21rocsparse_index_base_22rocsparse_matrix_type_20rocsparse_fill_mode_23rocsparse_storage_mode_P22rocsparse_data_status_,@function
_ZN9rocsparseL25check_matrix_gebsr_deviceILj256EdliEEv20rocsparse_direction_T2_S2_T1_S2_S2_PKT0_PKS3_PKS2_SA_21rocsparse_index_base_22rocsparse_matrix_type_20rocsparse_fill_mode_23rocsparse_storage_mode_P22rocsparse_data_status_: ; @_ZN9rocsparseL25check_matrix_gebsr_deviceILj256EdliEEv20rocsparse_direction_T2_S2_T1_S2_S2_PKT0_PKS3_PKS2_SA_21rocsparse_index_base_22rocsparse_matrix_type_20rocsparse_fill_mode_23rocsparse_storage_mode_P22rocsparse_data_status_
; %bb.0:
	s_load_dwordx4 s[16:19], s[0:1], 0x0
	v_mov_b32_e32 v5, 0
	v_lshl_or_b32 v4, s2, 8, v0
	s_waitcnt lgkmcnt(0)
	s_ashr_i32 s3, s17, 31
	s_mov_b32 s2, s17
	v_cmp_gt_i64_e32 vcc, s[2:3], v[4:5]
	s_and_saveexec_b64 s[2:3], vcc
	s_cbranch_execz .LBB9_60
; %bb.1:
	s_load_dwordx2 s[2:3], s[0:1], 0x28
	v_mov_b32_e32 v17, 3
	s_mov_b64 s[8:9], -1
	s_mov_b64 s[6:7], 0
	s_waitcnt lgkmcnt(0)
	v_lshl_add_u64 v[0:1], v[4:5], 3, s[2:3]
	global_load_dwordx4 v[0:3], v[0:1], off
	s_load_dwordx2 s[2:3], s[2:3], 0x0
	s_waitcnt lgkmcnt(0)
	v_mov_b32_e32 v5, s3
	s_waitcnt vmcnt(0)
	v_subrev_co_u32_e32 v6, vcc, s2, v0
	s_nop 1
	v_subb_co_u32_e32 v7, vcc, v1, v5, vcc
	v_subrev_co_u32_e32 v8, vcc, s2, v2
	v_cmp_lt_i64_e64 s[4:5], v[2:3], v[0:1]
	s_nop 0
	v_subb_co_u32_e32 v9, vcc, v3, v5, vcc
	v_cmp_gt_i64_e64 s[2:3], 0, v[8:9]
	s_or_b64 s[2:3], s[2:3], s[4:5]
	v_cmp_lt_i64_e32 vcc, -1, v[6:7]
	s_xor_b64 s[2:3], s[2:3], -1
	s_and_b64 s[2:3], vcc, s[2:3]
	s_and_saveexec_b64 s[24:25], s[2:3]
	s_cbranch_execz .LBB9_58
; %bb.2:
	v_cmp_lt_i64_e32 vcc, v[0:1], v[2:3]
	v_mov_b32_e32 v17, 3
	s_and_saveexec_b64 s[26:27], vcc
	s_cbranch_execz .LBB9_57
; %bb.3:
	s_load_dwordx4 s[20:23], s[0:1], 0x18
	s_load_dwordx8 s[8:15], s[0:1], 0x30
	s_cmp_lg_u32 s16, 0
	s_cselect_b64 s[28:29], -1, 0
	s_mov_b32 s42, 0
	s_waitcnt lgkmcnt(0)
	s_cmp_gt_i32 s21, 0
	s_cselect_b64 s[30:31], -1, 0
	s_cmp_gt_i32 s20, 0
	s_cselect_b64 s[34:35], -1, 0
	s_cmp_lg_u32 s13, 0
	s_mul_hi_i32 s3, s21, s20
	s_mul_i32 s2, s21, s20
	s_cselect_b64 s[36:37], -1, 0
	s_cmp_lg_u32 s14, 0
	v_mul_lo_u32 v2, s3, v6
	v_mul_lo_u32 v3, s2, v7
	v_mad_u64_u32 v[0:1], s[4:5], s2, v6, 0
	s_cselect_b64 s[38:39], -1, 0
	s_cmp_lg_u32 s15, 0
	v_add3_u32 v1, v1, v3, v2
	v_cndmask_b32_e64 v2, 0, 1, s[34:35]
	s_mov_b32 s17, 0
	s_cselect_b64 s[14:15], -1, 0
	v_lshl_add_u64 v[0:1], v[0:1], 3, s[22:23]
	s_lshl_b64 s[40:41], s[2:3], 3
	s_mov_b64 s[22:23], 0
	v_cmp_ne_u32_e64 s[2:3], 1, v2
	s_mov_b32 s43, 0x7ff00000
	v_mov_b64_e32 v[2:3], v[6:7]
                                        ; implicit-def: $sgpr44_sgpr45
                                        ; implicit-def: $sgpr46_sgpr47
                                        ; implicit-def: $sgpr48_sgpr49
	s_branch .LBB9_9
.LBB9_4:                                ;   in Loop: Header=BB9_9 Depth=1
	s_or_b64 exec, exec, s[60:61]
	s_orn2_b64 s[60:61], s[6:7], exec
	s_orn2_b64 s[4:5], s[4:5], exec
.LBB9_5:                                ;   in Loop: Header=BB9_9 Depth=1
	s_or_b64 exec, exec, s[58:59]
	s_orn2_b64 s[58:59], s[60:61], exec
	s_orn2_b64 s[6:7], s[4:5], exec
.LBB9_6:                                ;   in Loop: Header=BB9_9 Depth=1
	s_or_b64 exec, exec, s[56:57]
	s_orn2_b64 s[56:57], s[58:59], exec
	s_orn2_b64 s[4:5], s[6:7], exec
.LBB9_7:                                ;   in Loop: Header=BB9_9 Depth=1
	s_or_b64 exec, exec, s[52:53]
	s_andn2_b64 s[6:7], s[48:49], exec
	s_and_b64 s[48:49], s[56:57], exec
	s_or_b64 s[48:49], s[6:7], s[48:49]
	s_andn2_b64 s[6:7], s[46:47], exec
	s_and_b64 s[4:5], s[4:5], exec
	s_or_b64 s[46:47], s[6:7], s[4:5]
.LBB9_8:                                ;   in Loop: Header=BB9_9 Depth=1
	s_or_b64 exec, exec, s[50:51]
	s_and_b64 s[4:5], exec, s[46:47]
	s_or_b64 s[22:23], s[4:5], s[22:23]
	s_andn2_b64 s[4:5], s[44:45], exec
	s_and_b64 s[6:7], s[48:49], exec
	s_or_b64 s[44:45], s[4:5], s[6:7]
	s_andn2_b64 exec, exec, s[22:23]
	s_cbranch_execz .LBB9_56
.LBB9_9:                                ; =>This Loop Header: Depth=1
                                        ;     Child Loop BB9_33 Depth 2
                                        ;       Child Loop BB9_37 Depth 3
                                        ;     Child Loop BB9_17 Depth 2
                                        ;       Child Loop BB9_21 Depth 3
	v_lshl_add_u64 v[10:11], v[2:3], 2, s[8:9]
	global_load_dword v5, v[10:11], off
	v_mov_b32_e32 v17, 4
	s_or_b64 s[48:49], s[48:49], exec
	s_or_b64 s[46:47], s[46:47], exec
	s_waitcnt vmcnt(0)
	v_subrev_u32_e32 v16, s12, v5
	v_cmp_lt_i32_e32 vcc, -1, v16
	v_cmp_gt_i32_e64 s[4:5], s18, v16
	s_and_b64 s[4:5], vcc, s[4:5]
	s_and_saveexec_b64 s[50:51], s[4:5]
	s_cbranch_execz .LBB9_8
; %bb.10:                               ;   in Loop: Header=BB9_9 Depth=1
	v_cmp_le_i64_e64 s[54:55], v[2:3], v[6:7]
	v_cmp_gt_i64_e32 vcc, v[2:3], v[6:7]
	v_mov_b32_e32 v17, 4
	s_mov_b64 s[6:7], s[54:55]
	s_and_saveexec_b64 s[52:53], vcc
	s_cbranch_execz .LBB9_12
; %bb.11:                               ;   in Loop: Header=BB9_9 Depth=1
	v_lshl_add_u64 v[12:13], v[2:3], 2, s[10:11]
	global_load_dwordx2 v[12:13], v[12:13], off offset:-4
	v_mov_b32_e32 v17, 5
	s_waitcnt vmcnt(0)
	v_subrev_u32_e32 v14, s12, v12
	v_cmp_lt_i32_e64 s[4:5], -1, v14
	v_cmp_gt_i32_e64 s[6:7], s18, v14
	s_and_b64 s[4:5], s[4:5], s[6:7]
	v_cmp_ne_u32_e32 vcc, v13, v12
	s_xor_b64 s[4:5], s[4:5], -1
	s_or_b64 s[4:5], vcc, s[4:5]
	s_andn2_b64 s[6:7], s[54:55], exec
	s_and_b64 s[4:5], s[4:5], exec
	s_or_b64 s[6:7], s[6:7], s[4:5]
.LBB9_12:                               ;   in Loop: Header=BB9_9 Depth=1
	s_or_b64 exec, exec, s[52:53]
	s_mov_b64 s[4:5], -1
	s_mov_b64 s[56:57], -1
	s_and_saveexec_b64 s[52:53], s[6:7]
	s_cbranch_execz .LBB9_7
; %bb.13:                               ;   in Loop: Header=BB9_9 Depth=1
	s_and_b64 vcc, exec, s[28:29]
	s_cbranch_vccz .LBB9_29
; %bb.14:                               ;   in Loop: Header=BB9_9 Depth=1
	s_and_b64 vcc, exec, s[30:31]
	s_cbranch_vccz .LBB9_28
; %bb.15:                               ;   in Loop: Header=BB9_9 Depth=1
	s_mov_b32 s16, 0
	s_mov_b64 s[6:7], 0
	s_mov_b32 s13, s16
                                        ; implicit-def: $sgpr4_sgpr5
	s_branch .LBB9_17
.LBB9_16:                               ;   in Loop: Header=BB9_17 Depth=2
	s_or_b64 exec, exec, s[62:63]
	s_xor_b64 s[58:59], s[60:61], -1
	s_and_b64 s[56:57], exec, s[56:57]
	s_or_b64 s[6:7], s[56:57], s[6:7]
	s_andn2_b64 s[4:5], s[4:5], exec
	s_and_b64 s[56:57], s[58:59], exec
	s_or_b64 s[4:5], s[4:5], s[56:57]
	s_andn2_b64 exec, exec, s[6:7]
	s_cbranch_execz .LBB9_27
.LBB9_17:                               ;   Parent Loop BB9_9 Depth=1
                                        ; =>  This Loop Header: Depth=2
                                        ;       Child Loop BB9_21 Depth 3
	s_mov_b64 s[56:57], -1
	s_and_b64 vcc, exec, s[2:3]
	s_mov_b64 s[58:59], -1
                                        ; implicit-def: $vgpr17
	s_cbranch_vccnz .LBB9_25
; %bb.18:                               ;   in Loop: Header=BB9_17 Depth=2
	v_lshl_add_u64 v[12:13], s[16:17], 3, v[0:1]
	s_mov_b64 s[60:61], 0
	s_mov_b32 s19, s20
                                        ; implicit-def: $sgpr58_sgpr59
                                        ; implicit-def: $sgpr62_sgpr63
                                        ; implicit-def: $sgpr64_sgpr65
	s_branch .LBB9_21
.LBB9_19:                               ;   in Loop: Header=BB9_21 Depth=3
	s_or_b64 exec, exec, s[72:73]
	s_andn2_b64 s[64:65], s[64:65], exec
	s_and_b64 s[70:71], s[70:71], exec
	s_andn2_b64 s[62:63], s[62:63], exec
	s_and_b64 s[68:69], s[68:69], exec
	v_mov_b32_e32 v17, 2
	s_or_b64 s[64:65], s[64:65], s[70:71]
	s_or_b64 s[62:63], s[62:63], s[68:69]
.LBB9_20:                               ;   in Loop: Header=BB9_21 Depth=3
	s_or_b64 exec, exec, s[66:67]
	s_xor_b64 s[66:67], s[64:65], -1
	s_and_b64 s[68:69], exec, s[62:63]
	s_or_b64 s[60:61], s[68:69], s[60:61]
	s_andn2_b64 s[58:59], s[58:59], exec
	s_and_b64 s[66:67], s[66:67], exec
	s_or_b64 s[58:59], s[58:59], s[66:67]
	s_andn2_b64 exec, exec, s[60:61]
	s_cbranch_execz .LBB9_24
.LBB9_21:                               ;   Parent Loop BB9_9 Depth=1
                                        ;     Parent Loop BB9_17 Depth=2
                                        ; =>    This Inner Loop Header: Depth=3
	global_load_dwordx2 v[14:15], v[12:13], off
	v_mov_b32_e32 v17, 1
	s_or_b64 s[64:65], s[64:65], exec
	s_or_b64 s[62:63], s[62:63], exec
	s_waitcnt vmcnt(0)
	v_cmp_neq_f64_e32 vcc, s[42:43], v[14:15]
	s_and_saveexec_b64 s[66:67], vcc
	s_xor_b64 s[66:67], exec, s[66:67]
	s_cbranch_execz .LBB9_20
; %bb.22:                               ;   in Loop: Header=BB9_21 Depth=3
	v_cmp_o_f64_e32 vcc, v[14:15], v[14:15]
	s_mov_b64 s[68:69], -1
	s_mov_b64 s[70:71], -1
	s_and_saveexec_b64 s[72:73], vcc
	s_cbranch_execz .LBB9_19
; %bb.23:                               ;   in Loop: Header=BB9_21 Depth=3
	s_add_i32 s19, s19, -1
	s_cmp_eq_u32 s19, 0
	s_cselect_b64 s[68:69], -1, 0
	v_lshl_add_u64 v[12:13], v[12:13], 0, 8
	s_xor_b64 s[70:71], exec, -1
	s_orn2_b64 s[68:69], s[68:69], exec
	s_branch .LBB9_19
.LBB9_24:                               ;   in Loop: Header=BB9_17 Depth=2
	s_or_b64 exec, exec, s[60:61]
.LBB9_25:                               ;   in Loop: Header=BB9_17 Depth=2
	s_mov_b64 s[60:61], -1
	s_and_saveexec_b64 s[62:63], s[58:59]
	s_cbranch_execz .LBB9_16
; %bb.26:                               ;   in Loop: Header=BB9_17 Depth=2
	s_add_i32 s13, s13, 1
	s_add_i32 s16, s16, s20
	s_cmp_eq_u32 s13, s21
	s_cselect_b64 s[56:57], -1, 0
	s_xor_b64 s[60:61], exec, -1
	s_orn2_b64 s[56:57], s[56:57], exec
	s_branch .LBB9_16
.LBB9_27:                               ;   in Loop: Header=BB9_9 Depth=1
	s_or_b64 exec, exec, s[6:7]
.LBB9_28:                               ;   in Loop: Header=BB9_9 Depth=1
	s_branch .LBB9_44
.LBB9_29:                               ;   in Loop: Header=BB9_9 Depth=1
	s_mov_b64 s[4:5], 0
	s_cbranch_execz .LBB9_44
; %bb.30:                               ;   in Loop: Header=BB9_9 Depth=1
	s_and_b64 vcc, exec, s[34:35]
	s_cbranch_vccz .LBB9_54
; %bb.31:                               ;   in Loop: Header=BB9_9 Depth=1
	s_mov_b32 s16, 0
	s_mov_b64 s[6:7], 0
	s_mov_b32 s13, s16
                                        ; implicit-def: $sgpr4_sgpr5
	s_branch .LBB9_33
.LBB9_32:                               ;   in Loop: Header=BB9_33 Depth=2
	s_or_b64 exec, exec, s[62:63]
	s_xor_b64 s[58:59], s[60:61], -1
	s_and_b64 s[56:57], exec, s[56:57]
	s_or_b64 s[6:7], s[56:57], s[6:7]
	s_andn2_b64 s[4:5], s[4:5], exec
	s_and_b64 s[56:57], s[58:59], exec
	s_or_b64 s[4:5], s[4:5], s[56:57]
	s_andn2_b64 exec, exec, s[6:7]
	s_cbranch_execz .LBB9_43
.LBB9_33:                               ;   Parent Loop BB9_9 Depth=1
                                        ; =>  This Loop Header: Depth=2
                                        ;       Child Loop BB9_37 Depth 3
	s_mov_b64 s[56:57], -1
	s_andn2_b64 vcc, exec, s[30:31]
	s_mov_b64 s[58:59], -1
                                        ; implicit-def: $vgpr17
	s_cbranch_vccnz .LBB9_41
; %bb.34:                               ;   in Loop: Header=BB9_33 Depth=2
	v_lshl_add_u64 v[12:13], s[16:17], 3, v[0:1]
	s_mov_b64 s[60:61], 0
	s_mov_b32 s19, s21
                                        ; implicit-def: $sgpr58_sgpr59
                                        ; implicit-def: $sgpr62_sgpr63
                                        ; implicit-def: $sgpr64_sgpr65
	s_branch .LBB9_37
.LBB9_35:                               ;   in Loop: Header=BB9_37 Depth=3
	s_or_b64 exec, exec, s[72:73]
	s_andn2_b64 s[64:65], s[64:65], exec
	s_and_b64 s[70:71], s[70:71], exec
	s_andn2_b64 s[62:63], s[62:63], exec
	s_and_b64 s[68:69], s[68:69], exec
	v_mov_b32_e32 v17, 2
	s_or_b64 s[64:65], s[64:65], s[70:71]
	s_or_b64 s[62:63], s[62:63], s[68:69]
.LBB9_36:                               ;   in Loop: Header=BB9_37 Depth=3
	s_or_b64 exec, exec, s[66:67]
	s_xor_b64 s[66:67], s[64:65], -1
	s_and_b64 s[68:69], exec, s[62:63]
	s_or_b64 s[60:61], s[68:69], s[60:61]
	s_andn2_b64 s[58:59], s[58:59], exec
	s_and_b64 s[66:67], s[66:67], exec
	s_or_b64 s[58:59], s[58:59], s[66:67]
	s_andn2_b64 exec, exec, s[60:61]
	s_cbranch_execz .LBB9_40
.LBB9_37:                               ;   Parent Loop BB9_9 Depth=1
                                        ;     Parent Loop BB9_33 Depth=2
                                        ; =>    This Inner Loop Header: Depth=3
	global_load_dwordx2 v[14:15], v[12:13], off
	v_mov_b32_e32 v17, 1
	s_or_b64 s[64:65], s[64:65], exec
	s_or_b64 s[62:63], s[62:63], exec
	s_waitcnt vmcnt(0)
	v_cmp_neq_f64_e32 vcc, s[42:43], v[14:15]
	s_and_saveexec_b64 s[66:67], vcc
	s_xor_b64 s[66:67], exec, s[66:67]
	s_cbranch_execz .LBB9_36
; %bb.38:                               ;   in Loop: Header=BB9_37 Depth=3
	v_cmp_o_f64_e32 vcc, v[14:15], v[14:15]
	s_mov_b64 s[68:69], -1
	s_mov_b64 s[70:71], -1
	s_and_saveexec_b64 s[72:73], vcc
	s_cbranch_execz .LBB9_35
; %bb.39:                               ;   in Loop: Header=BB9_37 Depth=3
	s_add_i32 s19, s19, -1
	s_cmp_eq_u32 s19, 0
	s_cselect_b64 s[68:69], -1, 0
	v_lshl_add_u64 v[12:13], v[12:13], 0, 8
	s_xor_b64 s[70:71], exec, -1
	s_orn2_b64 s[68:69], s[68:69], exec
	s_branch .LBB9_35
.LBB9_40:                               ;   in Loop: Header=BB9_33 Depth=2
	s_or_b64 exec, exec, s[60:61]
.LBB9_41:                               ;   in Loop: Header=BB9_33 Depth=2
	s_mov_b64 s[60:61], -1
	s_and_saveexec_b64 s[62:63], s[58:59]
	s_cbranch_execz .LBB9_32
; %bb.42:                               ;   in Loop: Header=BB9_33 Depth=2
	s_add_i32 s13, s13, 1
	s_add_i32 s16, s16, s21
	s_cmp_eq_u32 s13, s20
	s_cselect_b64 s[56:57], -1, 0
	s_xor_b64 s[60:61], exec, -1
	s_orn2_b64 s[56:57], s[56:57], exec
	s_branch .LBB9_32
.LBB9_43:                               ;   in Loop: Header=BB9_9 Depth=1
	s_or_b64 exec, exec, s[6:7]
.LBB9_44:                               ;   in Loop: Header=BB9_9 Depth=1
	s_mov_b64 s[6:7], -1
	s_mov_b64 s[58:59], -1
	s_and_saveexec_b64 s[56:57], s[4:5]
	s_cbranch_execz .LBB9_6
.LBB9_45:                               ;   in Loop: Header=BB9_9 Depth=1
	s_mov_b64 s[4:5], -1
	s_and_b64 vcc, exec, s[36:37]
	s_cbranch_vccz .LBB9_49
; %bb.46:                               ;   in Loop: Header=BB9_9 Depth=1
	s_and_b64 vcc, exec, s[38:39]
	s_cbranch_vccz .LBB9_55
; %bb.47:                               ;   in Loop: Header=BB9_9 Depth=1
	v_cmp_le_u32_e32 vcc, v4, v16
	v_mov_b32_e32 v17, 7
	s_and_b64 s[6:7], vcc, exec
	s_cbranch_execnz .LBB9_49
.LBB9_48:                               ;   in Loop: Header=BB9_9 Depth=1
	v_cmp_ge_u32_e32 vcc, v4, v16
	s_andn2_b64 s[6:7], s[6:7], exec
	s_and_b64 s[58:59], vcc, exec
	v_mov_b32_e32 v17, 7
	s_or_b64 s[6:7], s[6:7], s[58:59]
.LBB9_49:                               ;   in Loop: Header=BB9_9 Depth=1
	s_mov_b64 s[60:61], -1
	s_and_saveexec_b64 s[58:59], s[6:7]
	s_cbranch_execz .LBB9_5
; %bb.50:                               ;   in Loop: Header=BB9_9 Depth=1
	s_or_b64 s[54:55], s[14:15], s[54:55]
	s_xor_b64 s[4:5], s[54:55], -1
	s_and_saveexec_b64 s[60:61], s[4:5]
	s_cbranch_execz .LBB9_52
; %bb.51:                               ;   in Loop: Header=BB9_9 Depth=1
	global_load_dword v10, v[10:11], off offset:-4
	v_mov_b32_e32 v17, 6
	s_waitcnt vmcnt(0)
	v_subrev_u32_e32 v11, s12, v10
	v_cmp_lt_i32_e64 s[4:5], -1, v11
	v_cmp_gt_i32_e64 s[6:7], s18, v11
	s_and_b64 s[4:5], s[4:5], s[6:7]
	v_cmp_gt_i32_e32 vcc, v5, v10
	s_xor_b64 s[4:5], s[4:5], -1
	s_or_b64 s[4:5], vcc, s[4:5]
	s_andn2_b64 s[6:7], s[54:55], exec
	s_and_b64 s[4:5], s[4:5], exec
	s_or_b64 s[54:55], s[6:7], s[4:5]
.LBB9_52:                               ;   in Loop: Header=BB9_9 Depth=1
	s_or_b64 exec, exec, s[60:61]
	s_mov_b64 s[4:5], -1
	s_mov_b64 s[6:7], -1
	s_and_saveexec_b64 s[60:61], s[54:55]
	s_cbranch_execz .LBB9_4
; %bb.53:                               ;   in Loop: Header=BB9_9 Depth=1
	v_lshl_add_u64 v[2:3], v[2:3], 0, 1
	v_cmp_ge_i64_e32 vcc, v[2:3], v[8:9]
	v_lshl_add_u64 v[0:1], v[0:1], 0, s[40:41]
	s_xor_b64 s[6:7], exec, -1
	s_orn2_b64 s[4:5], vcc, exec
	s_branch .LBB9_4
.LBB9_54:                               ;   in Loop: Header=BB9_9 Depth=1
	s_mov_b64 s[4:5], -1
	s_mov_b64 s[6:7], -1
	;; [unrolled: 1-line block ×3, first 2 shown]
	s_and_saveexec_b64 s[56:57], s[4:5]
	s_cbranch_execz .LBB9_6
	s_branch .LBB9_45
.LBB9_55:                               ;   in Loop: Header=BB9_9 Depth=1
	s_mov_b64 s[6:7], 0
	s_andn2_b64 vcc, exec, s[58:59]
	s_cbranch_vccz .LBB9_48
	s_branch .LBB9_49
.LBB9_56:
	s_or_b64 exec, exec, s[22:23]
	s_and_b64 s[6:7], s[44:45], exec
.LBB9_57:
	s_or_b64 exec, exec, s[26:27]
	s_orn2_b64 s[8:9], s[6:7], exec
.LBB9_58:
	s_or_b64 exec, exec, s[24:25]
	s_and_b64 exec, exec, s[8:9]
	s_cbranch_execz .LBB9_60
; %bb.59:
	s_load_dwordx2 s[0:1], s[0:1], 0x50
	v_mov_b32_e32 v0, 0
	s_waitcnt lgkmcnt(0)
	global_store_dword v0, v17, s[0:1]
.LBB9_60:
	s_endpgm
	.section	.rodata,"a",@progbits
	.p2align	6, 0x0
	.amdhsa_kernel _ZN9rocsparseL25check_matrix_gebsr_deviceILj256EdliEEv20rocsparse_direction_T2_S2_T1_S2_S2_PKT0_PKS3_PKS2_SA_21rocsparse_index_base_22rocsparse_matrix_type_20rocsparse_fill_mode_23rocsparse_storage_mode_P22rocsparse_data_status_
		.amdhsa_group_segment_fixed_size 0
		.amdhsa_private_segment_fixed_size 0
		.amdhsa_kernarg_size 88
		.amdhsa_user_sgpr_count 2
		.amdhsa_user_sgpr_dispatch_ptr 0
		.amdhsa_user_sgpr_queue_ptr 0
		.amdhsa_user_sgpr_kernarg_segment_ptr 1
		.amdhsa_user_sgpr_dispatch_id 0
		.amdhsa_user_sgpr_kernarg_preload_length 0
		.amdhsa_user_sgpr_kernarg_preload_offset 0
		.amdhsa_user_sgpr_private_segment_size 0
		.amdhsa_uses_dynamic_stack 0
		.amdhsa_enable_private_segment 0
		.amdhsa_system_sgpr_workgroup_id_x 1
		.amdhsa_system_sgpr_workgroup_id_y 0
		.amdhsa_system_sgpr_workgroup_id_z 0
		.amdhsa_system_sgpr_workgroup_info 0
		.amdhsa_system_vgpr_workitem_id 0
		.amdhsa_next_free_vgpr 18
		.amdhsa_next_free_sgpr 74
		.amdhsa_accum_offset 20
		.amdhsa_reserve_vcc 1
		.amdhsa_float_round_mode_32 0
		.amdhsa_float_round_mode_16_64 0
		.amdhsa_float_denorm_mode_32 3
		.amdhsa_float_denorm_mode_16_64 3
		.amdhsa_dx10_clamp 1
		.amdhsa_ieee_mode 1
		.amdhsa_fp16_overflow 0
		.amdhsa_tg_split 0
		.amdhsa_exception_fp_ieee_invalid_op 0
		.amdhsa_exception_fp_denorm_src 0
		.amdhsa_exception_fp_ieee_div_zero 0
		.amdhsa_exception_fp_ieee_overflow 0
		.amdhsa_exception_fp_ieee_underflow 0
		.amdhsa_exception_fp_ieee_inexact 0
		.amdhsa_exception_int_div_zero 0
	.end_amdhsa_kernel
	.section	.text._ZN9rocsparseL25check_matrix_gebsr_deviceILj256EdliEEv20rocsparse_direction_T2_S2_T1_S2_S2_PKT0_PKS3_PKS2_SA_21rocsparse_index_base_22rocsparse_matrix_type_20rocsparse_fill_mode_23rocsparse_storage_mode_P22rocsparse_data_status_,"axG",@progbits,_ZN9rocsparseL25check_matrix_gebsr_deviceILj256EdliEEv20rocsparse_direction_T2_S2_T1_S2_S2_PKT0_PKS3_PKS2_SA_21rocsparse_index_base_22rocsparse_matrix_type_20rocsparse_fill_mode_23rocsparse_storage_mode_P22rocsparse_data_status_,comdat
.Lfunc_end9:
	.size	_ZN9rocsparseL25check_matrix_gebsr_deviceILj256EdliEEv20rocsparse_direction_T2_S2_T1_S2_S2_PKT0_PKS3_PKS2_SA_21rocsparse_index_base_22rocsparse_matrix_type_20rocsparse_fill_mode_23rocsparse_storage_mode_P22rocsparse_data_status_, .Lfunc_end9-_ZN9rocsparseL25check_matrix_gebsr_deviceILj256EdliEEv20rocsparse_direction_T2_S2_T1_S2_S2_PKT0_PKS3_PKS2_SA_21rocsparse_index_base_22rocsparse_matrix_type_20rocsparse_fill_mode_23rocsparse_storage_mode_P22rocsparse_data_status_
                                        ; -- End function
	.set _ZN9rocsparseL25check_matrix_gebsr_deviceILj256EdliEEv20rocsparse_direction_T2_S2_T1_S2_S2_PKT0_PKS3_PKS2_SA_21rocsparse_index_base_22rocsparse_matrix_type_20rocsparse_fill_mode_23rocsparse_storage_mode_P22rocsparse_data_status_.num_vgpr, 18
	.set _ZN9rocsparseL25check_matrix_gebsr_deviceILj256EdliEEv20rocsparse_direction_T2_S2_T1_S2_S2_PKT0_PKS3_PKS2_SA_21rocsparse_index_base_22rocsparse_matrix_type_20rocsparse_fill_mode_23rocsparse_storage_mode_P22rocsparse_data_status_.num_agpr, 0
	.set _ZN9rocsparseL25check_matrix_gebsr_deviceILj256EdliEEv20rocsparse_direction_T2_S2_T1_S2_S2_PKT0_PKS3_PKS2_SA_21rocsparse_index_base_22rocsparse_matrix_type_20rocsparse_fill_mode_23rocsparse_storage_mode_P22rocsparse_data_status_.numbered_sgpr, 74
	.set _ZN9rocsparseL25check_matrix_gebsr_deviceILj256EdliEEv20rocsparse_direction_T2_S2_T1_S2_S2_PKT0_PKS3_PKS2_SA_21rocsparse_index_base_22rocsparse_matrix_type_20rocsparse_fill_mode_23rocsparse_storage_mode_P22rocsparse_data_status_.num_named_barrier, 0
	.set _ZN9rocsparseL25check_matrix_gebsr_deviceILj256EdliEEv20rocsparse_direction_T2_S2_T1_S2_S2_PKT0_PKS3_PKS2_SA_21rocsparse_index_base_22rocsparse_matrix_type_20rocsparse_fill_mode_23rocsparse_storage_mode_P22rocsparse_data_status_.private_seg_size, 0
	.set _ZN9rocsparseL25check_matrix_gebsr_deviceILj256EdliEEv20rocsparse_direction_T2_S2_T1_S2_S2_PKT0_PKS3_PKS2_SA_21rocsparse_index_base_22rocsparse_matrix_type_20rocsparse_fill_mode_23rocsparse_storage_mode_P22rocsparse_data_status_.uses_vcc, 1
	.set _ZN9rocsparseL25check_matrix_gebsr_deviceILj256EdliEEv20rocsparse_direction_T2_S2_T1_S2_S2_PKT0_PKS3_PKS2_SA_21rocsparse_index_base_22rocsparse_matrix_type_20rocsparse_fill_mode_23rocsparse_storage_mode_P22rocsparse_data_status_.uses_flat_scratch, 0
	.set _ZN9rocsparseL25check_matrix_gebsr_deviceILj256EdliEEv20rocsparse_direction_T2_S2_T1_S2_S2_PKT0_PKS3_PKS2_SA_21rocsparse_index_base_22rocsparse_matrix_type_20rocsparse_fill_mode_23rocsparse_storage_mode_P22rocsparse_data_status_.has_dyn_sized_stack, 0
	.set _ZN9rocsparseL25check_matrix_gebsr_deviceILj256EdliEEv20rocsparse_direction_T2_S2_T1_S2_S2_PKT0_PKS3_PKS2_SA_21rocsparse_index_base_22rocsparse_matrix_type_20rocsparse_fill_mode_23rocsparse_storage_mode_P22rocsparse_data_status_.has_recursion, 0
	.set _ZN9rocsparseL25check_matrix_gebsr_deviceILj256EdliEEv20rocsparse_direction_T2_S2_T1_S2_S2_PKT0_PKS3_PKS2_SA_21rocsparse_index_base_22rocsparse_matrix_type_20rocsparse_fill_mode_23rocsparse_storage_mode_P22rocsparse_data_status_.has_indirect_call, 0
	.section	.AMDGPU.csdata,"",@progbits
; Kernel info:
; codeLenInByte = 1564
; TotalNumSgprs: 80
; NumVgprs: 18
; NumAgprs: 0
; TotalNumVgprs: 18
; ScratchSize: 0
; MemoryBound: 0
; FloatMode: 240
; IeeeMode: 1
; LDSByteSize: 0 bytes/workgroup (compile time only)
; SGPRBlocks: 9
; VGPRBlocks: 2
; NumSGPRsForWavesPerEU: 80
; NumVGPRsForWavesPerEU: 18
; AccumOffset: 20
; Occupancy: 8
; WaveLimiterHint : 0
; COMPUTE_PGM_RSRC2:SCRATCH_EN: 0
; COMPUTE_PGM_RSRC2:USER_SGPR: 2
; COMPUTE_PGM_RSRC2:TRAP_HANDLER: 0
; COMPUTE_PGM_RSRC2:TGID_X_EN: 1
; COMPUTE_PGM_RSRC2:TGID_Y_EN: 0
; COMPUTE_PGM_RSRC2:TGID_Z_EN: 0
; COMPUTE_PGM_RSRC2:TIDIG_COMP_CNT: 0
; COMPUTE_PGM_RSRC3_GFX90A:ACCUM_OFFSET: 4
; COMPUTE_PGM_RSRC3_GFX90A:TG_SPLIT: 0
	.section	.text._ZN9rocsparseL25check_matrix_gebsr_deviceILj256E21rocsparse_complex_numIfEliEEv20rocsparse_direction_T2_S4_T1_S4_S4_PKT0_PKS5_PKS4_SC_21rocsparse_index_base_22rocsparse_matrix_type_20rocsparse_fill_mode_23rocsparse_storage_mode_P22rocsparse_data_status_,"axG",@progbits,_ZN9rocsparseL25check_matrix_gebsr_deviceILj256E21rocsparse_complex_numIfEliEEv20rocsparse_direction_T2_S4_T1_S4_S4_PKT0_PKS5_PKS4_SC_21rocsparse_index_base_22rocsparse_matrix_type_20rocsparse_fill_mode_23rocsparse_storage_mode_P22rocsparse_data_status_,comdat
	.globl	_ZN9rocsparseL25check_matrix_gebsr_deviceILj256E21rocsparse_complex_numIfEliEEv20rocsparse_direction_T2_S4_T1_S4_S4_PKT0_PKS5_PKS4_SC_21rocsparse_index_base_22rocsparse_matrix_type_20rocsparse_fill_mode_23rocsparse_storage_mode_P22rocsparse_data_status_ ; -- Begin function _ZN9rocsparseL25check_matrix_gebsr_deviceILj256E21rocsparse_complex_numIfEliEEv20rocsparse_direction_T2_S4_T1_S4_S4_PKT0_PKS5_PKS4_SC_21rocsparse_index_base_22rocsparse_matrix_type_20rocsparse_fill_mode_23rocsparse_storage_mode_P22rocsparse_data_status_
	.p2align	8
	.type	_ZN9rocsparseL25check_matrix_gebsr_deviceILj256E21rocsparse_complex_numIfEliEEv20rocsparse_direction_T2_S4_T1_S4_S4_PKT0_PKS5_PKS4_SC_21rocsparse_index_base_22rocsparse_matrix_type_20rocsparse_fill_mode_23rocsparse_storage_mode_P22rocsparse_data_status_,@function
_ZN9rocsparseL25check_matrix_gebsr_deviceILj256E21rocsparse_complex_numIfEliEEv20rocsparse_direction_T2_S4_T1_S4_S4_PKT0_PKS5_PKS4_SC_21rocsparse_index_base_22rocsparse_matrix_type_20rocsparse_fill_mode_23rocsparse_storage_mode_P22rocsparse_data_status_: ; @_ZN9rocsparseL25check_matrix_gebsr_deviceILj256E21rocsparse_complex_numIfEliEEv20rocsparse_direction_T2_S4_T1_S4_S4_PKT0_PKS5_PKS4_SC_21rocsparse_index_base_22rocsparse_matrix_type_20rocsparse_fill_mode_23rocsparse_storage_mode_P22rocsparse_data_status_
; %bb.0:
	s_load_dwordx4 s[16:19], s[0:1], 0x0
	v_mov_b32_e32 v5, 0
	v_lshl_or_b32 v4, s2, 8, v0
	s_waitcnt lgkmcnt(0)
	s_ashr_i32 s3, s17, 31
	s_mov_b32 s2, s17
	v_cmp_gt_i64_e32 vcc, s[2:3], v[4:5]
	s_and_saveexec_b64 s[2:3], vcc
	s_cbranch_execz .LBB10_61
; %bb.1:
	s_load_dwordx2 s[2:3], s[0:1], 0x28
	v_mov_b32_e32 v15, 3
	s_mov_b64 s[8:9], -1
	s_mov_b64 s[6:7], 0
	s_waitcnt lgkmcnt(0)
	v_lshl_add_u64 v[0:1], v[4:5], 3, s[2:3]
	global_load_dwordx4 v[0:3], v[0:1], off
	s_load_dwordx2 s[2:3], s[2:3], 0x0
	s_waitcnt lgkmcnt(0)
	v_mov_b32_e32 v5, s3
	s_waitcnt vmcnt(0)
	v_subrev_co_u32_e32 v6, vcc, s2, v0
	s_nop 1
	v_subb_co_u32_e32 v7, vcc, v1, v5, vcc
	v_subrev_co_u32_e32 v8, vcc, s2, v2
	v_cmp_lt_i64_e64 s[4:5], v[2:3], v[0:1]
	s_nop 0
	v_subb_co_u32_e32 v9, vcc, v3, v5, vcc
	v_cmp_gt_i64_e64 s[2:3], 0, v[8:9]
	s_or_b64 s[2:3], s[2:3], s[4:5]
	v_cmp_lt_i64_e32 vcc, -1, v[6:7]
	s_xor_b64 s[2:3], s[2:3], -1
	s_and_b64 s[2:3], vcc, s[2:3]
	s_and_saveexec_b64 s[24:25], s[2:3]
	s_cbranch_execz .LBB10_59
; %bb.2:
	v_cmp_lt_i64_e32 vcc, v[0:1], v[2:3]
	v_mov_b32_e32 v15, 3
	s_and_saveexec_b64 s[26:27], vcc
	s_cbranch_execz .LBB10_58
; %bb.3:
	s_load_dwordx4 s[20:23], s[0:1], 0x18
	s_load_dwordx8 s[8:15], s[0:1], 0x30
	s_cmp_lg_u32 s16, 0
	s_cselect_b64 s[28:29], -1, 0
	s_mov_b32 s17, 0
	s_waitcnt lgkmcnt(0)
	s_cmp_gt_i32 s21, 0
	s_cselect_b64 s[30:31], -1, 0
	s_cmp_gt_i32 s20, 0
	s_cselect_b64 s[34:35], -1, 0
	s_cmp_lg_u32 s13, 0
	s_mul_hi_i32 s3, s21, s20
	s_mul_i32 s2, s21, s20
	s_cselect_b64 s[36:37], -1, 0
	s_cmp_lg_u32 s14, 0
	v_mul_lo_u32 v2, s3, v6
	v_mul_lo_u32 v3, s2, v7
	v_mad_u64_u32 v[0:1], s[4:5], s2, v6, 0
	s_cselect_b64 s[38:39], -1, 0
	s_cmp_lg_u32 s15, 0
	v_add3_u32 v1, v1, v3, v2
	v_cndmask_b32_e64 v2, 0, 1, s[34:35]
	s_cselect_b64 s[14:15], -1, 0
	v_lshl_add_u64 v[0:1], v[0:1], 3, s[22:23]
	s_lshl_b64 s[40:41], s[2:3], 3
	s_mov_b64 s[22:23], 0
	v_cmp_ne_u32_e64 s[2:3], 1, v2
	s_mov_b32 s13, 0x7f800000
	v_mov_b64_e32 v[2:3], v[6:7]
                                        ; implicit-def: $sgpr42_sgpr43
                                        ; implicit-def: $sgpr44_sgpr45
                                        ; implicit-def: $sgpr46_sgpr47
	s_branch .LBB10_9
.LBB10_4:                               ;   in Loop: Header=BB10_9 Depth=1
	s_or_b64 exec, exec, s[58:59]
	s_orn2_b64 s[58:59], s[6:7], exec
	s_orn2_b64 s[4:5], s[4:5], exec
.LBB10_5:                               ;   in Loop: Header=BB10_9 Depth=1
	s_or_b64 exec, exec, s[56:57]
	s_orn2_b64 s[56:57], s[58:59], exec
	s_orn2_b64 s[4:5], s[4:5], exec
.LBB10_6:                               ;   in Loop: Header=BB10_9 Depth=1
	s_or_b64 exec, exec, s[54:55]
	s_orn2_b64 s[6:7], s[56:57], exec
	s_orn2_b64 s[4:5], s[4:5], exec
.LBB10_7:                               ;   in Loop: Header=BB10_9 Depth=1
	s_or_b64 exec, exec, s[50:51]
	s_andn2_b64 s[46:47], s[46:47], exec
	s_and_b64 s[6:7], s[6:7], exec
	s_or_b64 s[46:47], s[46:47], s[6:7]
	s_andn2_b64 s[6:7], s[44:45], exec
	s_and_b64 s[4:5], s[4:5], exec
	s_or_b64 s[44:45], s[6:7], s[4:5]
.LBB10_8:                               ;   in Loop: Header=BB10_9 Depth=1
	s_or_b64 exec, exec, s[48:49]
	s_and_b64 s[4:5], exec, s[44:45]
	s_or_b64 s[22:23], s[4:5], s[22:23]
	s_andn2_b64 s[4:5], s[42:43], exec
	s_and_b64 s[6:7], s[46:47], exec
	s_or_b64 s[42:43], s[4:5], s[6:7]
	s_andn2_b64 exec, exec, s[22:23]
	s_cbranch_execz .LBB10_57
.LBB10_9:                               ; =>This Loop Header: Depth=1
                                        ;     Child Loop BB10_33 Depth 2
                                        ;       Child Loop BB10_37 Depth 3
                                        ;     Child Loop BB10_17 Depth 2
                                        ;       Child Loop BB10_21 Depth 3
	v_lshl_add_u64 v[10:11], v[2:3], 2, s[8:9]
	global_load_dword v5, v[10:11], off
	v_mov_b32_e32 v15, 4
	s_or_b64 s[46:47], s[46:47], exec
	s_or_b64 s[44:45], s[44:45], exec
	s_waitcnt vmcnt(0)
	v_subrev_u32_e32 v14, s12, v5
	v_cmp_lt_i32_e32 vcc, -1, v14
	v_cmp_gt_i32_e64 s[4:5], s18, v14
	s_and_b64 s[4:5], vcc, s[4:5]
	s_and_saveexec_b64 s[48:49], s[4:5]
	s_cbranch_execz .LBB10_8
; %bb.10:                               ;   in Loop: Header=BB10_9 Depth=1
	v_cmp_le_i64_e64 s[52:53], v[2:3], v[6:7]
	v_cmp_gt_i64_e32 vcc, v[2:3], v[6:7]
	v_mov_b32_e32 v15, 4
	s_mov_b64 s[54:55], s[52:53]
	s_and_saveexec_b64 s[50:51], vcc
	s_cbranch_execz .LBB10_12
; %bb.11:                               ;   in Loop: Header=BB10_9 Depth=1
	v_lshl_add_u64 v[12:13], v[2:3], 2, s[10:11]
	global_load_dwordx2 v[12:13], v[12:13], off offset:-4
	v_mov_b32_e32 v15, 5
	s_waitcnt vmcnt(0)
	v_subrev_u32_e32 v16, s12, v12
	v_cmp_lt_i32_e64 s[4:5], -1, v16
	v_cmp_gt_i32_e64 s[6:7], s18, v16
	s_and_b64 s[4:5], s[4:5], s[6:7]
	v_cmp_ne_u32_e32 vcc, v13, v12
	s_xor_b64 s[4:5], s[4:5], -1
	s_or_b64 s[4:5], vcc, s[4:5]
	s_andn2_b64 s[6:7], s[52:53], exec
	s_and_b64 s[4:5], s[4:5], exec
	s_or_b64 s[54:55], s[6:7], s[4:5]
.LBB10_12:                              ;   in Loop: Header=BB10_9 Depth=1
	s_or_b64 exec, exec, s[50:51]
	s_mov_b64 s[4:5], -1
	s_mov_b64 s[6:7], -1
	s_and_saveexec_b64 s[50:51], s[54:55]
	s_cbranch_execz .LBB10_7
; %bb.13:                               ;   in Loop: Header=BB10_9 Depth=1
	s_and_b64 vcc, exec, s[28:29]
	s_cbranch_vccz .LBB10_29
; %bb.14:                               ;   in Loop: Header=BB10_9 Depth=1
	s_and_b64 vcc, exec, s[30:31]
	s_cbranch_vccz .LBB10_28
; %bb.15:                               ;   in Loop: Header=BB10_9 Depth=1
	s_mov_b32 s16, 0
	s_mov_b64 s[54:55], 0
	s_mov_b32 s19, s16
                                        ; implicit-def: $sgpr6_sgpr7
	s_branch .LBB10_17
.LBB10_16:                              ;   in Loop: Header=BB10_17 Depth=2
	s_or_b64 exec, exec, s[60:61]
	s_xor_b64 s[4:5], s[4:5], -1
	s_and_b64 s[56:57], exec, s[56:57]
	s_or_b64 s[54:55], s[56:57], s[54:55]
	s_andn2_b64 s[6:7], s[6:7], exec
	s_and_b64 s[4:5], s[4:5], exec
	s_or_b64 s[6:7], s[6:7], s[4:5]
	s_andn2_b64 exec, exec, s[54:55]
	s_cbranch_execz .LBB10_27
.LBB10_17:                              ;   Parent Loop BB10_9 Depth=1
                                        ; =>  This Loop Header: Depth=2
                                        ;       Child Loop BB10_21 Depth 3
	s_mov_b64 s[56:57], -1
	s_and_b64 vcc, exec, s[2:3]
	s_mov_b64 s[58:59], -1
                                        ; implicit-def: $vgpr15
	s_cbranch_vccnz .LBB10_25
; %bb.18:                               ;   in Loop: Header=BB10_17 Depth=2
	s_lshl_b64 s[62:63], s[16:17], 3
	s_mov_b64 s[60:61], 0
	s_mov_b32 s33, s20
                                        ; implicit-def: $sgpr58_sgpr59
                                        ; implicit-def: $sgpr64_sgpr65
                                        ; implicit-def: $sgpr66_sgpr67
	s_branch .LBB10_21
.LBB10_19:                              ;   in Loop: Header=BB10_21 Depth=3
	s_or_b64 exec, exec, s[72:73]
	s_andn2_b64 s[66:67], s[66:67], exec
	s_and_b64 s[70:71], s[70:71], exec
	s_andn2_b64 s[64:65], s[64:65], exec
	s_and_b64 s[68:69], s[68:69], exec
	v_mov_b32_e32 v15, 2
	s_or_b64 s[66:67], s[66:67], s[70:71]
	s_or_b64 s[64:65], s[64:65], s[68:69]
.LBB10_20:                              ;   in Loop: Header=BB10_21 Depth=3
	s_or_b64 exec, exec, s[4:5]
	s_xor_b64 s[4:5], s[66:67], -1
	s_and_b64 s[68:69], exec, s[64:65]
	s_or_b64 s[60:61], s[68:69], s[60:61]
	s_andn2_b64 s[58:59], s[58:59], exec
	s_and_b64 s[4:5], s[4:5], exec
	s_or_b64 s[58:59], s[58:59], s[4:5]
	s_andn2_b64 exec, exec, s[60:61]
	s_cbranch_execz .LBB10_24
.LBB10_21:                              ;   Parent Loop BB10_9 Depth=1
                                        ;     Parent Loop BB10_17 Depth=2
                                        ; =>    This Inner Loop Header: Depth=3
	v_lshl_add_u64 v[12:13], v[0:1], 0, s[62:63]
	global_load_dwordx2 v[12:13], v[12:13], off
	v_mov_b32_e32 v15, 1
	s_or_b64 s[66:67], s[66:67], exec
	s_or_b64 s[64:65], s[64:65], exec
	s_waitcnt vmcnt(0)
	v_cmp_neq_f32_e32 vcc, s13, v12
	v_cmp_neq_f32_e64 s[4:5], s13, v13
	s_and_b64 s[4:5], vcc, s[4:5]
	s_and_saveexec_b64 s[68:69], s[4:5]
	s_xor_b64 s[4:5], exec, s[68:69]
	s_cbranch_execz .LBB10_20
; %bb.22:                               ;   in Loop: Header=BB10_21 Depth=3
	v_cmp_o_f32_e32 vcc, v12, v13
	s_mov_b64 s[68:69], -1
	s_mov_b64 s[70:71], -1
	s_and_saveexec_b64 s[72:73], vcc
	s_cbranch_execz .LBB10_19
; %bb.23:                               ;   in Loop: Header=BB10_21 Depth=3
	s_add_i32 s33, s33, -1
	s_add_u32 s62, s62, 8
	s_addc_u32 s63, s63, 0
	s_cmp_eq_u32 s33, 0
	s_cselect_b64 s[68:69], -1, 0
	s_xor_b64 s[70:71], exec, -1
	s_orn2_b64 s[68:69], s[68:69], exec
	s_branch .LBB10_19
.LBB10_24:                              ;   in Loop: Header=BB10_17 Depth=2
	s_or_b64 exec, exec, s[60:61]
.LBB10_25:                              ;   in Loop: Header=BB10_17 Depth=2
	s_mov_b64 s[4:5], -1
	s_and_saveexec_b64 s[60:61], s[58:59]
	s_cbranch_execz .LBB10_16
; %bb.26:                               ;   in Loop: Header=BB10_17 Depth=2
	s_add_i32 s19, s19, 1
	s_add_i32 s16, s16, s20
	s_cmp_eq_u32 s19, s21
	s_cselect_b64 s[56:57], -1, 0
	s_xor_b64 s[4:5], exec, -1
	s_orn2_b64 s[56:57], s[56:57], exec
	s_branch .LBB10_16
.LBB10_27:                              ;   in Loop: Header=BB10_9 Depth=1
	s_or_b64 exec, exec, s[54:55]
.LBB10_28:                              ;   in Loop: Header=BB10_9 Depth=1
	s_branch .LBB10_44
.LBB10_29:                              ;   in Loop: Header=BB10_9 Depth=1
	s_mov_b64 s[6:7], 0
	s_and_b64 vcc, exec, s[4:5]
	s_cbranch_vccz .LBB10_44
; %bb.30:                               ;   in Loop: Header=BB10_9 Depth=1
	s_and_b64 vcc, exec, s[34:35]
	s_cbranch_vccz .LBB10_48
; %bb.31:                               ;   in Loop: Header=BB10_9 Depth=1
	s_mov_b32 s16, 0
	s_mov_b64 s[54:55], 0
	s_mov_b32 s19, s16
                                        ; implicit-def: $sgpr6_sgpr7
	s_branch .LBB10_33
.LBB10_32:                              ;   in Loop: Header=BB10_33 Depth=2
	s_or_b64 exec, exec, s[60:61]
	s_xor_b64 s[4:5], s[4:5], -1
	s_and_b64 s[56:57], exec, s[56:57]
	s_or_b64 s[54:55], s[56:57], s[54:55]
	s_andn2_b64 s[6:7], s[6:7], exec
	s_and_b64 s[4:5], s[4:5], exec
	s_or_b64 s[6:7], s[6:7], s[4:5]
	s_andn2_b64 exec, exec, s[54:55]
	s_cbranch_execz .LBB10_43
.LBB10_33:                              ;   Parent Loop BB10_9 Depth=1
                                        ; =>  This Loop Header: Depth=2
                                        ;       Child Loop BB10_37 Depth 3
	s_mov_b64 s[56:57], -1
	s_andn2_b64 vcc, exec, s[30:31]
	s_mov_b64 s[58:59], -1
                                        ; implicit-def: $vgpr15
	s_cbranch_vccnz .LBB10_41
; %bb.34:                               ;   in Loop: Header=BB10_33 Depth=2
	s_lshl_b64 s[62:63], s[16:17], 3
	s_mov_b64 s[60:61], 0
	s_mov_b32 s33, s21
                                        ; implicit-def: $sgpr58_sgpr59
                                        ; implicit-def: $sgpr64_sgpr65
                                        ; implicit-def: $sgpr66_sgpr67
	s_branch .LBB10_37
.LBB10_35:                              ;   in Loop: Header=BB10_37 Depth=3
	s_or_b64 exec, exec, s[72:73]
	s_andn2_b64 s[66:67], s[66:67], exec
	s_and_b64 s[70:71], s[70:71], exec
	s_andn2_b64 s[64:65], s[64:65], exec
	s_and_b64 s[68:69], s[68:69], exec
	v_mov_b32_e32 v15, 2
	s_or_b64 s[66:67], s[66:67], s[70:71]
	s_or_b64 s[64:65], s[64:65], s[68:69]
.LBB10_36:                              ;   in Loop: Header=BB10_37 Depth=3
	s_or_b64 exec, exec, s[4:5]
	s_xor_b64 s[4:5], s[66:67], -1
	s_and_b64 s[68:69], exec, s[64:65]
	s_or_b64 s[60:61], s[68:69], s[60:61]
	s_andn2_b64 s[58:59], s[58:59], exec
	s_and_b64 s[4:5], s[4:5], exec
	s_or_b64 s[58:59], s[58:59], s[4:5]
	s_andn2_b64 exec, exec, s[60:61]
	s_cbranch_execz .LBB10_40
.LBB10_37:                              ;   Parent Loop BB10_9 Depth=1
                                        ;     Parent Loop BB10_33 Depth=2
                                        ; =>    This Inner Loop Header: Depth=3
	v_lshl_add_u64 v[12:13], v[0:1], 0, s[62:63]
	global_load_dwordx2 v[12:13], v[12:13], off
	v_mov_b32_e32 v15, 1
	s_or_b64 s[66:67], s[66:67], exec
	s_or_b64 s[64:65], s[64:65], exec
	s_waitcnt vmcnt(0)
	v_cmp_neq_f32_e32 vcc, s13, v12
	v_cmp_neq_f32_e64 s[4:5], s13, v13
	s_and_b64 s[4:5], vcc, s[4:5]
	s_and_saveexec_b64 s[68:69], s[4:5]
	s_xor_b64 s[4:5], exec, s[68:69]
	s_cbranch_execz .LBB10_36
; %bb.38:                               ;   in Loop: Header=BB10_37 Depth=3
	v_cmp_o_f32_e32 vcc, v12, v13
	s_mov_b64 s[68:69], -1
	s_mov_b64 s[70:71], -1
	s_and_saveexec_b64 s[72:73], vcc
	s_cbranch_execz .LBB10_35
; %bb.39:                               ;   in Loop: Header=BB10_37 Depth=3
	s_add_i32 s33, s33, -1
	s_add_u32 s62, s62, 8
	s_addc_u32 s63, s63, 0
	s_cmp_eq_u32 s33, 0
	s_cselect_b64 s[68:69], -1, 0
	s_xor_b64 s[70:71], exec, -1
	s_orn2_b64 s[68:69], s[68:69], exec
	s_branch .LBB10_35
.LBB10_40:                              ;   in Loop: Header=BB10_33 Depth=2
	s_or_b64 exec, exec, s[60:61]
.LBB10_41:                              ;   in Loop: Header=BB10_33 Depth=2
	s_mov_b64 s[4:5], -1
	s_and_saveexec_b64 s[60:61], s[58:59]
	s_cbranch_execz .LBB10_32
; %bb.42:                               ;   in Loop: Header=BB10_33 Depth=2
	s_add_i32 s19, s19, 1
	s_add_i32 s16, s16, s21
	s_cmp_eq_u32 s19, s20
	s_cselect_b64 s[56:57], -1, 0
	s_xor_b64 s[4:5], exec, -1
	s_orn2_b64 s[56:57], s[56:57], exec
	s_branch .LBB10_32
.LBB10_43:                              ;   in Loop: Header=BB10_9 Depth=1
	s_or_b64 exec, exec, s[54:55]
.LBB10_44:                              ;   in Loop: Header=BB10_9 Depth=1
	s_mov_b64 s[4:5], -1
	s_mov_b64 s[56:57], -1
	s_and_saveexec_b64 s[54:55], s[6:7]
	s_cbranch_execz .LBB10_6
.LBB10_45:                              ;   in Loop: Header=BB10_9 Depth=1
	s_and_b64 vcc, exec, s[36:37]
	s_cbranch_vccz .LBB10_49
; %bb.46:                               ;   in Loop: Header=BB10_9 Depth=1
	s_and_b64 vcc, exec, s[38:39]
	s_cbranch_vccz .LBB10_50
; %bb.47:                               ;   in Loop: Header=BB10_9 Depth=1
	v_cmp_le_u32_e32 vcc, v4, v14
	v_mov_b32_e32 v15, 7
	s_and_b64 s[6:7], vcc, exec
	s_cbranch_execz .LBB10_51
	s_branch .LBB10_52
.LBB10_48:                              ;   in Loop: Header=BB10_9 Depth=1
	s_mov_b64 s[6:7], -1
	s_mov_b64 s[4:5], -1
	;; [unrolled: 1-line block ×3, first 2 shown]
	s_and_saveexec_b64 s[54:55], s[6:7]
	s_cbranch_execz .LBB10_6
	s_branch .LBB10_45
.LBB10_49:                              ;   in Loop: Header=BB10_9 Depth=1
	s_mov_b64 s[6:7], -1
	s_branch .LBB10_52
.LBB10_50:                              ;   in Loop: Header=BB10_9 Depth=1
	s_mov_b64 s[6:7], 0
	s_andn2_b64 vcc, exec, s[56:57]
	s_cbranch_vccnz .LBB10_52
.LBB10_51:                              ;   in Loop: Header=BB10_9 Depth=1
	v_cmp_ge_u32_e32 vcc, v4, v14
	s_andn2_b64 s[6:7], s[6:7], exec
	s_and_b64 s[56:57], vcc, exec
	v_mov_b32_e32 v15, 7
	s_or_b64 s[6:7], s[6:7], s[56:57]
.LBB10_52:                              ;   in Loop: Header=BB10_9 Depth=1
	s_mov_b64 s[58:59], -1
	s_and_saveexec_b64 s[56:57], s[6:7]
	s_cbranch_execz .LBB10_5
; %bb.53:                               ;   in Loop: Header=BB10_9 Depth=1
	s_or_b64 s[52:53], s[14:15], s[52:53]
	s_xor_b64 s[4:5], s[52:53], -1
	s_and_saveexec_b64 s[58:59], s[4:5]
	s_cbranch_execz .LBB10_55
; %bb.54:                               ;   in Loop: Header=BB10_9 Depth=1
	global_load_dword v10, v[10:11], off offset:-4
	v_mov_b32_e32 v15, 6
	s_waitcnt vmcnt(0)
	v_subrev_u32_e32 v11, s12, v10
	v_cmp_lt_i32_e64 s[4:5], -1, v11
	v_cmp_gt_i32_e64 s[6:7], s18, v11
	s_and_b64 s[4:5], s[4:5], s[6:7]
	v_cmp_gt_i32_e32 vcc, v5, v10
	s_xor_b64 s[4:5], s[4:5], -1
	s_or_b64 s[4:5], vcc, s[4:5]
	s_andn2_b64 s[6:7], s[52:53], exec
	s_and_b64 s[4:5], s[4:5], exec
	s_or_b64 s[52:53], s[6:7], s[4:5]
.LBB10_55:                              ;   in Loop: Header=BB10_9 Depth=1
	s_or_b64 exec, exec, s[58:59]
	s_mov_b64 s[4:5], -1
	s_mov_b64 s[6:7], -1
	s_and_saveexec_b64 s[58:59], s[52:53]
	s_cbranch_execz .LBB10_4
; %bb.56:                               ;   in Loop: Header=BB10_9 Depth=1
	v_lshl_add_u64 v[2:3], v[2:3], 0, 1
	v_cmp_ge_i64_e32 vcc, v[2:3], v[8:9]
	v_lshl_add_u64 v[0:1], v[0:1], 0, s[40:41]
	s_xor_b64 s[6:7], exec, -1
	s_orn2_b64 s[4:5], vcc, exec
	s_branch .LBB10_4
.LBB10_57:
	s_or_b64 exec, exec, s[22:23]
	s_and_b64 s[6:7], s[42:43], exec
.LBB10_58:
	s_or_b64 exec, exec, s[26:27]
	s_orn2_b64 s[8:9], s[6:7], exec
.LBB10_59:
	s_or_b64 exec, exec, s[24:25]
	s_and_b64 exec, exec, s[8:9]
	s_cbranch_execz .LBB10_61
; %bb.60:
	s_load_dwordx2 s[0:1], s[0:1], 0x50
	v_mov_b32_e32 v0, 0
	s_waitcnt lgkmcnt(0)
	global_store_dword v0, v15, s[0:1]
.LBB10_61:
	s_endpgm
	.section	.rodata,"a",@progbits
	.p2align	6, 0x0
	.amdhsa_kernel _ZN9rocsparseL25check_matrix_gebsr_deviceILj256E21rocsparse_complex_numIfEliEEv20rocsparse_direction_T2_S4_T1_S4_S4_PKT0_PKS5_PKS4_SC_21rocsparse_index_base_22rocsparse_matrix_type_20rocsparse_fill_mode_23rocsparse_storage_mode_P22rocsparse_data_status_
		.amdhsa_group_segment_fixed_size 0
		.amdhsa_private_segment_fixed_size 0
		.amdhsa_kernarg_size 88
		.amdhsa_user_sgpr_count 2
		.amdhsa_user_sgpr_dispatch_ptr 0
		.amdhsa_user_sgpr_queue_ptr 0
		.amdhsa_user_sgpr_kernarg_segment_ptr 1
		.amdhsa_user_sgpr_dispatch_id 0
		.amdhsa_user_sgpr_kernarg_preload_length 0
		.amdhsa_user_sgpr_kernarg_preload_offset 0
		.amdhsa_user_sgpr_private_segment_size 0
		.amdhsa_uses_dynamic_stack 0
		.amdhsa_enable_private_segment 0
		.amdhsa_system_sgpr_workgroup_id_x 1
		.amdhsa_system_sgpr_workgroup_id_y 0
		.amdhsa_system_sgpr_workgroup_id_z 0
		.amdhsa_system_sgpr_workgroup_info 0
		.amdhsa_system_vgpr_workitem_id 0
		.amdhsa_next_free_vgpr 17
		.amdhsa_next_free_sgpr 74
		.amdhsa_accum_offset 20
		.amdhsa_reserve_vcc 1
		.amdhsa_float_round_mode_32 0
		.amdhsa_float_round_mode_16_64 0
		.amdhsa_float_denorm_mode_32 3
		.amdhsa_float_denorm_mode_16_64 3
		.amdhsa_dx10_clamp 1
		.amdhsa_ieee_mode 1
		.amdhsa_fp16_overflow 0
		.amdhsa_tg_split 0
		.amdhsa_exception_fp_ieee_invalid_op 0
		.amdhsa_exception_fp_denorm_src 0
		.amdhsa_exception_fp_ieee_div_zero 0
		.amdhsa_exception_fp_ieee_overflow 0
		.amdhsa_exception_fp_ieee_underflow 0
		.amdhsa_exception_fp_ieee_inexact 0
		.amdhsa_exception_int_div_zero 0
	.end_amdhsa_kernel
	.section	.text._ZN9rocsparseL25check_matrix_gebsr_deviceILj256E21rocsparse_complex_numIfEliEEv20rocsparse_direction_T2_S4_T1_S4_S4_PKT0_PKS5_PKS4_SC_21rocsparse_index_base_22rocsparse_matrix_type_20rocsparse_fill_mode_23rocsparse_storage_mode_P22rocsparse_data_status_,"axG",@progbits,_ZN9rocsparseL25check_matrix_gebsr_deviceILj256E21rocsparse_complex_numIfEliEEv20rocsparse_direction_T2_S4_T1_S4_S4_PKT0_PKS5_PKS4_SC_21rocsparse_index_base_22rocsparse_matrix_type_20rocsparse_fill_mode_23rocsparse_storage_mode_P22rocsparse_data_status_,comdat
.Lfunc_end10:
	.size	_ZN9rocsparseL25check_matrix_gebsr_deviceILj256E21rocsparse_complex_numIfEliEEv20rocsparse_direction_T2_S4_T1_S4_S4_PKT0_PKS5_PKS4_SC_21rocsparse_index_base_22rocsparse_matrix_type_20rocsparse_fill_mode_23rocsparse_storage_mode_P22rocsparse_data_status_, .Lfunc_end10-_ZN9rocsparseL25check_matrix_gebsr_deviceILj256E21rocsparse_complex_numIfEliEEv20rocsparse_direction_T2_S4_T1_S4_S4_PKT0_PKS5_PKS4_SC_21rocsparse_index_base_22rocsparse_matrix_type_20rocsparse_fill_mode_23rocsparse_storage_mode_P22rocsparse_data_status_
                                        ; -- End function
	.set _ZN9rocsparseL25check_matrix_gebsr_deviceILj256E21rocsparse_complex_numIfEliEEv20rocsparse_direction_T2_S4_T1_S4_S4_PKT0_PKS5_PKS4_SC_21rocsparse_index_base_22rocsparse_matrix_type_20rocsparse_fill_mode_23rocsparse_storage_mode_P22rocsparse_data_status_.num_vgpr, 17
	.set _ZN9rocsparseL25check_matrix_gebsr_deviceILj256E21rocsparse_complex_numIfEliEEv20rocsparse_direction_T2_S4_T1_S4_S4_PKT0_PKS5_PKS4_SC_21rocsparse_index_base_22rocsparse_matrix_type_20rocsparse_fill_mode_23rocsparse_storage_mode_P22rocsparse_data_status_.num_agpr, 0
	.set _ZN9rocsparseL25check_matrix_gebsr_deviceILj256E21rocsparse_complex_numIfEliEEv20rocsparse_direction_T2_S4_T1_S4_S4_PKT0_PKS5_PKS4_SC_21rocsparse_index_base_22rocsparse_matrix_type_20rocsparse_fill_mode_23rocsparse_storage_mode_P22rocsparse_data_status_.numbered_sgpr, 74
	.set _ZN9rocsparseL25check_matrix_gebsr_deviceILj256E21rocsparse_complex_numIfEliEEv20rocsparse_direction_T2_S4_T1_S4_S4_PKT0_PKS5_PKS4_SC_21rocsparse_index_base_22rocsparse_matrix_type_20rocsparse_fill_mode_23rocsparse_storage_mode_P22rocsparse_data_status_.num_named_barrier, 0
	.set _ZN9rocsparseL25check_matrix_gebsr_deviceILj256E21rocsparse_complex_numIfEliEEv20rocsparse_direction_T2_S4_T1_S4_S4_PKT0_PKS5_PKS4_SC_21rocsparse_index_base_22rocsparse_matrix_type_20rocsparse_fill_mode_23rocsparse_storage_mode_P22rocsparse_data_status_.private_seg_size, 0
	.set _ZN9rocsparseL25check_matrix_gebsr_deviceILj256E21rocsparse_complex_numIfEliEEv20rocsparse_direction_T2_S4_T1_S4_S4_PKT0_PKS5_PKS4_SC_21rocsparse_index_base_22rocsparse_matrix_type_20rocsparse_fill_mode_23rocsparse_storage_mode_P22rocsparse_data_status_.uses_vcc, 1
	.set _ZN9rocsparseL25check_matrix_gebsr_deviceILj256E21rocsparse_complex_numIfEliEEv20rocsparse_direction_T2_S4_T1_S4_S4_PKT0_PKS5_PKS4_SC_21rocsparse_index_base_22rocsparse_matrix_type_20rocsparse_fill_mode_23rocsparse_storage_mode_P22rocsparse_data_status_.uses_flat_scratch, 0
	.set _ZN9rocsparseL25check_matrix_gebsr_deviceILj256E21rocsparse_complex_numIfEliEEv20rocsparse_direction_T2_S4_T1_S4_S4_PKT0_PKS5_PKS4_SC_21rocsparse_index_base_22rocsparse_matrix_type_20rocsparse_fill_mode_23rocsparse_storage_mode_P22rocsparse_data_status_.has_dyn_sized_stack, 0
	.set _ZN9rocsparseL25check_matrix_gebsr_deviceILj256E21rocsparse_complex_numIfEliEEv20rocsparse_direction_T2_S4_T1_S4_S4_PKT0_PKS5_PKS4_SC_21rocsparse_index_base_22rocsparse_matrix_type_20rocsparse_fill_mode_23rocsparse_storage_mode_P22rocsparse_data_status_.has_recursion, 0
	.set _ZN9rocsparseL25check_matrix_gebsr_deviceILj256E21rocsparse_complex_numIfEliEEv20rocsparse_direction_T2_S4_T1_S4_S4_PKT0_PKS5_PKS4_SC_21rocsparse_index_base_22rocsparse_matrix_type_20rocsparse_fill_mode_23rocsparse_storage_mode_P22rocsparse_data_status_.has_indirect_call, 0
	.section	.AMDGPU.csdata,"",@progbits
; Kernel info:
; codeLenInByte = 1600
; TotalNumSgprs: 80
; NumVgprs: 17
; NumAgprs: 0
; TotalNumVgprs: 17
; ScratchSize: 0
; MemoryBound: 0
; FloatMode: 240
; IeeeMode: 1
; LDSByteSize: 0 bytes/workgroup (compile time only)
; SGPRBlocks: 9
; VGPRBlocks: 2
; NumSGPRsForWavesPerEU: 80
; NumVGPRsForWavesPerEU: 17
; AccumOffset: 20
; Occupancy: 8
; WaveLimiterHint : 0
; COMPUTE_PGM_RSRC2:SCRATCH_EN: 0
; COMPUTE_PGM_RSRC2:USER_SGPR: 2
; COMPUTE_PGM_RSRC2:TRAP_HANDLER: 0
; COMPUTE_PGM_RSRC2:TGID_X_EN: 1
; COMPUTE_PGM_RSRC2:TGID_Y_EN: 0
; COMPUTE_PGM_RSRC2:TGID_Z_EN: 0
; COMPUTE_PGM_RSRC2:TIDIG_COMP_CNT: 0
; COMPUTE_PGM_RSRC3_GFX90A:ACCUM_OFFSET: 4
; COMPUTE_PGM_RSRC3_GFX90A:TG_SPLIT: 0
	.section	.text._ZN9rocsparseL25check_matrix_gebsr_deviceILj256E21rocsparse_complex_numIdEliEEv20rocsparse_direction_T2_S4_T1_S4_S4_PKT0_PKS5_PKS4_SC_21rocsparse_index_base_22rocsparse_matrix_type_20rocsparse_fill_mode_23rocsparse_storage_mode_P22rocsparse_data_status_,"axG",@progbits,_ZN9rocsparseL25check_matrix_gebsr_deviceILj256E21rocsparse_complex_numIdEliEEv20rocsparse_direction_T2_S4_T1_S4_S4_PKT0_PKS5_PKS4_SC_21rocsparse_index_base_22rocsparse_matrix_type_20rocsparse_fill_mode_23rocsparse_storage_mode_P22rocsparse_data_status_,comdat
	.globl	_ZN9rocsparseL25check_matrix_gebsr_deviceILj256E21rocsparse_complex_numIdEliEEv20rocsparse_direction_T2_S4_T1_S4_S4_PKT0_PKS5_PKS4_SC_21rocsparse_index_base_22rocsparse_matrix_type_20rocsparse_fill_mode_23rocsparse_storage_mode_P22rocsparse_data_status_ ; -- Begin function _ZN9rocsparseL25check_matrix_gebsr_deviceILj256E21rocsparse_complex_numIdEliEEv20rocsparse_direction_T2_S4_T1_S4_S4_PKT0_PKS5_PKS4_SC_21rocsparse_index_base_22rocsparse_matrix_type_20rocsparse_fill_mode_23rocsparse_storage_mode_P22rocsparse_data_status_
	.p2align	8
	.type	_ZN9rocsparseL25check_matrix_gebsr_deviceILj256E21rocsparse_complex_numIdEliEEv20rocsparse_direction_T2_S4_T1_S4_S4_PKT0_PKS5_PKS4_SC_21rocsparse_index_base_22rocsparse_matrix_type_20rocsparse_fill_mode_23rocsparse_storage_mode_P22rocsparse_data_status_,@function
_ZN9rocsparseL25check_matrix_gebsr_deviceILj256E21rocsparse_complex_numIdEliEEv20rocsparse_direction_T2_S4_T1_S4_S4_PKT0_PKS5_PKS4_SC_21rocsparse_index_base_22rocsparse_matrix_type_20rocsparse_fill_mode_23rocsparse_storage_mode_P22rocsparse_data_status_: ; @_ZN9rocsparseL25check_matrix_gebsr_deviceILj256E21rocsparse_complex_numIdEliEEv20rocsparse_direction_T2_S4_T1_S4_S4_PKT0_PKS5_PKS4_SC_21rocsparse_index_base_22rocsparse_matrix_type_20rocsparse_fill_mode_23rocsparse_storage_mode_P22rocsparse_data_status_
; %bb.0:
	s_load_dwordx4 s[16:19], s[0:1], 0x0
	v_mov_b32_e32 v5, 0
	v_lshl_or_b32 v4, s2, 8, v0
	s_waitcnt lgkmcnt(0)
	s_ashr_i32 s3, s17, 31
	s_mov_b32 s2, s17
	v_cmp_gt_i64_e32 vcc, s[2:3], v[4:5]
	s_and_saveexec_b64 s[2:3], vcc
	s_cbranch_execz .LBB11_61
; %bb.1:
	s_load_dwordx2 s[2:3], s[0:1], 0x28
	v_mov_b32_e32 v17, 3
	s_mov_b64 s[8:9], -1
	s_mov_b64 s[6:7], 0
	s_waitcnt lgkmcnt(0)
	v_lshl_add_u64 v[0:1], v[4:5], 3, s[2:3]
	global_load_dwordx4 v[0:3], v[0:1], off
	s_load_dwordx2 s[2:3], s[2:3], 0x0
	s_waitcnt lgkmcnt(0)
	v_mov_b32_e32 v5, s3
	s_waitcnt vmcnt(0)
	v_subrev_co_u32_e32 v6, vcc, s2, v0
	s_nop 1
	v_subb_co_u32_e32 v7, vcc, v1, v5, vcc
	v_subrev_co_u32_e32 v8, vcc, s2, v2
	v_cmp_lt_i64_e64 s[4:5], v[2:3], v[0:1]
	s_nop 0
	v_subb_co_u32_e32 v9, vcc, v3, v5, vcc
	v_cmp_gt_i64_e64 s[2:3], 0, v[8:9]
	s_or_b64 s[2:3], s[2:3], s[4:5]
	v_cmp_lt_i64_e32 vcc, -1, v[6:7]
	s_xor_b64 s[2:3], s[2:3], -1
	s_and_b64 s[2:3], vcc, s[2:3]
	s_and_saveexec_b64 s[24:25], s[2:3]
	s_cbranch_execz .LBB11_59
; %bb.2:
	v_cmp_lt_i64_e32 vcc, v[0:1], v[2:3]
	v_mov_b32_e32 v17, 3
	s_and_saveexec_b64 s[26:27], vcc
	s_cbranch_execz .LBB11_58
; %bb.3:
	s_load_dwordx4 s[20:23], s[0:1], 0x18
	s_load_dwordx8 s[8:15], s[0:1], 0x30
	s_cmp_lg_u32 s16, 0
	s_cselect_b64 s[28:29], -1, 0
	s_mov_b32 s42, 0
	s_waitcnt lgkmcnt(0)
	s_cmp_gt_i32 s21, 0
	s_cselect_b64 s[30:31], -1, 0
	s_cmp_gt_i32 s20, 0
	s_mul_hi_i32 s3, s21, s20
	s_mul_i32 s2, s21, s20
	s_cselect_b64 s[34:35], -1, 0
	s_cmp_lg_u32 s13, 0
	v_mul_lo_u32 v2, s3, v6
	v_mul_lo_u32 v3, s2, v7
	v_mad_u64_u32 v[0:1], s[4:5], s2, v6, 0
	s_cselect_b64 s[36:37], -1, 0
	s_cmp_lg_u32 s14, 0
	v_add3_u32 v1, v1, v3, v2
	s_cselect_b64 s[38:39], -1, 0
	s_cmp_lg_u32 s15, 0
	v_lshl_add_u64 v[10:11], v[0:1], 4, s[22:23]
	v_cndmask_b32_e64 v0, 0, 1, s[34:35]
	s_mov_b32 s17, 0
	s_cselect_b64 s[14:15], -1, 0
	s_lshl_b64 s[40:41], s[2:3], 4
	s_mov_b64 s[22:23], 0
	v_cmp_ne_u32_e64 s[2:3], 1, v0
	s_mov_b32 s43, 0x7ff00000
	v_mov_b64_e32 v[12:13], v[6:7]
                                        ; implicit-def: $sgpr44_sgpr45
                                        ; implicit-def: $sgpr46_sgpr47
                                        ; implicit-def: $sgpr48_sgpr49
	s_branch .LBB11_9
.LBB11_4:                               ;   in Loop: Header=BB11_9 Depth=1
	s_or_b64 exec, exec, s[60:61]
	s_orn2_b64 s[60:61], s[6:7], exec
	s_orn2_b64 s[4:5], s[4:5], exec
.LBB11_5:                               ;   in Loop: Header=BB11_9 Depth=1
	s_or_b64 exec, exec, s[58:59]
	s_orn2_b64 s[58:59], s[60:61], exec
	s_orn2_b64 s[4:5], s[4:5], exec
.LBB11_6:                               ;   in Loop: Header=BB11_9 Depth=1
	s_or_b64 exec, exec, s[56:57]
	s_orn2_b64 s[6:7], s[58:59], exec
	s_orn2_b64 s[4:5], s[4:5], exec
.LBB11_7:                               ;   in Loop: Header=BB11_9 Depth=1
	s_or_b64 exec, exec, s[52:53]
	s_andn2_b64 s[48:49], s[48:49], exec
	s_and_b64 s[6:7], s[6:7], exec
	s_or_b64 s[48:49], s[48:49], s[6:7]
	s_andn2_b64 s[6:7], s[46:47], exec
	s_and_b64 s[4:5], s[4:5], exec
	s_or_b64 s[46:47], s[6:7], s[4:5]
.LBB11_8:                               ;   in Loop: Header=BB11_9 Depth=1
	s_or_b64 exec, exec, s[50:51]
	s_and_b64 s[4:5], exec, s[46:47]
	s_or_b64 s[22:23], s[4:5], s[22:23]
	s_andn2_b64 s[4:5], s[44:45], exec
	s_and_b64 s[6:7], s[48:49], exec
	s_or_b64 s[44:45], s[4:5], s[6:7]
	s_andn2_b64 exec, exec, s[22:23]
	s_cbranch_execz .LBB11_57
.LBB11_9:                               ; =>This Loop Header: Depth=1
                                        ;     Child Loop BB11_33 Depth 2
                                        ;       Child Loop BB11_37 Depth 3
                                        ;     Child Loop BB11_17 Depth 2
                                        ;       Child Loop BB11_21 Depth 3
	v_lshl_add_u64 v[14:15], v[12:13], 2, s[8:9]
	global_load_dword v5, v[14:15], off
	v_mov_b32_e32 v17, 4
	s_or_b64 s[48:49], s[48:49], exec
	s_or_b64 s[46:47], s[46:47], exec
	s_waitcnt vmcnt(0)
	v_subrev_u32_e32 v16, s12, v5
	v_cmp_lt_i32_e32 vcc, -1, v16
	v_cmp_gt_i32_e64 s[4:5], s18, v16
	s_and_b64 s[4:5], vcc, s[4:5]
	s_and_saveexec_b64 s[50:51], s[4:5]
	s_cbranch_execz .LBB11_8
; %bb.10:                               ;   in Loop: Header=BB11_9 Depth=1
	v_cmp_le_i64_e64 s[54:55], v[12:13], v[6:7]
	v_cmp_gt_i64_e32 vcc, v[12:13], v[6:7]
	v_mov_b32_e32 v17, 4
	s_mov_b64 s[56:57], s[54:55]
	s_and_saveexec_b64 s[52:53], vcc
	s_cbranch_execz .LBB11_12
; %bb.11:                               ;   in Loop: Header=BB11_9 Depth=1
	v_lshl_add_u64 v[0:1], v[12:13], 2, s[10:11]
	global_load_dwordx2 v[0:1], v[0:1], off offset:-4
	v_mov_b32_e32 v17, 5
	s_waitcnt vmcnt(0)
	v_subrev_u32_e32 v2, s12, v0
	v_cmp_lt_i32_e64 s[4:5], -1, v2
	v_cmp_gt_i32_e64 s[6:7], s18, v2
	s_and_b64 s[4:5], s[4:5], s[6:7]
	v_cmp_ne_u32_e32 vcc, v1, v0
	s_xor_b64 s[4:5], s[4:5], -1
	s_or_b64 s[4:5], vcc, s[4:5]
	s_andn2_b64 s[6:7], s[54:55], exec
	s_and_b64 s[4:5], s[4:5], exec
	s_or_b64 s[56:57], s[6:7], s[4:5]
.LBB11_12:                              ;   in Loop: Header=BB11_9 Depth=1
	s_or_b64 exec, exec, s[52:53]
	s_mov_b64 s[4:5], -1
	s_mov_b64 s[6:7], -1
	s_and_saveexec_b64 s[52:53], s[56:57]
	s_cbranch_execz .LBB11_7
; %bb.13:                               ;   in Loop: Header=BB11_9 Depth=1
	s_and_b64 vcc, exec, s[28:29]
	s_cbranch_vccz .LBB11_29
; %bb.14:                               ;   in Loop: Header=BB11_9 Depth=1
	s_and_b64 vcc, exec, s[30:31]
	s_cbranch_vccz .LBB11_28
; %bb.15:                               ;   in Loop: Header=BB11_9 Depth=1
	s_mov_b32 s16, 0
	s_mov_b64 s[56:57], 0
	s_mov_b32 s13, s16
                                        ; implicit-def: $sgpr6_sgpr7
	s_branch .LBB11_17
.LBB11_16:                              ;   in Loop: Header=BB11_17 Depth=2
	s_or_b64 exec, exec, s[62:63]
	s_xor_b64 s[4:5], s[4:5], -1
	s_and_b64 s[58:59], exec, s[58:59]
	s_or_b64 s[56:57], s[58:59], s[56:57]
	s_andn2_b64 s[6:7], s[6:7], exec
	s_and_b64 s[4:5], s[4:5], exec
	s_or_b64 s[6:7], s[6:7], s[4:5]
	s_andn2_b64 exec, exec, s[56:57]
	s_cbranch_execz .LBB11_27
.LBB11_17:                              ;   Parent Loop BB11_9 Depth=1
                                        ; =>  This Loop Header: Depth=2
                                        ;       Child Loop BB11_21 Depth 3
	s_mov_b64 s[58:59], -1
	s_and_b64 vcc, exec, s[2:3]
	s_mov_b64 s[60:61], -1
                                        ; implicit-def: $vgpr17
	s_cbranch_vccnz .LBB11_25
; %bb.18:                               ;   in Loop: Header=BB11_17 Depth=2
	s_lshl_b64 s[64:65], s[16:17], 4
	s_mov_b64 s[62:63], 0
	s_mov_b32 s19, s20
                                        ; implicit-def: $sgpr60_sgpr61
                                        ; implicit-def: $sgpr66_sgpr67
                                        ; implicit-def: $sgpr68_sgpr69
	s_branch .LBB11_21
.LBB11_19:                              ;   in Loop: Header=BB11_21 Depth=3
	s_or_b64 exec, exec, s[74:75]
	s_andn2_b64 s[68:69], s[68:69], exec
	s_and_b64 s[72:73], s[72:73], exec
	s_andn2_b64 s[66:67], s[66:67], exec
	s_and_b64 s[70:71], s[70:71], exec
	v_mov_b32_e32 v17, 2
	s_or_b64 s[68:69], s[68:69], s[72:73]
	s_or_b64 s[66:67], s[66:67], s[70:71]
.LBB11_20:                              ;   in Loop: Header=BB11_21 Depth=3
	s_or_b64 exec, exec, s[4:5]
	s_xor_b64 s[4:5], s[68:69], -1
	s_and_b64 s[70:71], exec, s[66:67]
	s_or_b64 s[62:63], s[70:71], s[62:63]
	s_andn2_b64 s[60:61], s[60:61], exec
	s_and_b64 s[4:5], s[4:5], exec
	s_or_b64 s[60:61], s[60:61], s[4:5]
	s_andn2_b64 exec, exec, s[62:63]
	s_cbranch_execz .LBB11_24
.LBB11_21:                              ;   Parent Loop BB11_9 Depth=1
                                        ;     Parent Loop BB11_17 Depth=2
                                        ; =>    This Inner Loop Header: Depth=3
	v_lshl_add_u64 v[0:1], v[10:11], 0, s[64:65]
	global_load_dwordx4 v[0:3], v[0:1], off
	v_mov_b32_e32 v17, 1
	s_or_b64 s[68:69], s[68:69], exec
	s_or_b64 s[66:67], s[66:67], exec
	s_waitcnt vmcnt(0)
	v_cmp_neq_f64_e32 vcc, s[42:43], v[0:1]
	v_cmp_neq_f64_e64 s[4:5], s[42:43], v[2:3]
	s_and_b64 s[4:5], vcc, s[4:5]
	s_and_saveexec_b64 s[70:71], s[4:5]
	s_xor_b64 s[4:5], exec, s[70:71]
	s_cbranch_execz .LBB11_20
; %bb.22:                               ;   in Loop: Header=BB11_21 Depth=3
	v_cmp_o_f64_e32 vcc, v[0:1], v[2:3]
	s_mov_b64 s[70:71], -1
	s_mov_b64 s[72:73], -1
	s_and_saveexec_b64 s[74:75], vcc
	s_cbranch_execz .LBB11_19
; %bb.23:                               ;   in Loop: Header=BB11_21 Depth=3
	s_add_i32 s19, s19, -1
	s_add_u32 s64, s64, 16
	s_addc_u32 s65, s65, 0
	s_cmp_eq_u32 s19, 0
	s_cselect_b64 s[70:71], -1, 0
	s_xor_b64 s[72:73], exec, -1
	s_orn2_b64 s[70:71], s[70:71], exec
	s_branch .LBB11_19
.LBB11_24:                              ;   in Loop: Header=BB11_17 Depth=2
	s_or_b64 exec, exec, s[62:63]
.LBB11_25:                              ;   in Loop: Header=BB11_17 Depth=2
	s_mov_b64 s[4:5], -1
	s_and_saveexec_b64 s[62:63], s[60:61]
	s_cbranch_execz .LBB11_16
; %bb.26:                               ;   in Loop: Header=BB11_17 Depth=2
	s_add_i32 s13, s13, 1
	s_add_i32 s16, s16, s20
	s_cmp_eq_u32 s13, s21
	s_cselect_b64 s[58:59], -1, 0
	s_xor_b64 s[4:5], exec, -1
	s_orn2_b64 s[58:59], s[58:59], exec
	s_branch .LBB11_16
.LBB11_27:                              ;   in Loop: Header=BB11_9 Depth=1
	s_or_b64 exec, exec, s[56:57]
.LBB11_28:                              ;   in Loop: Header=BB11_9 Depth=1
	s_branch .LBB11_44
.LBB11_29:                              ;   in Loop: Header=BB11_9 Depth=1
	s_mov_b64 s[6:7], 0
	s_and_b64 vcc, exec, s[4:5]
	s_cbranch_vccz .LBB11_44
; %bb.30:                               ;   in Loop: Header=BB11_9 Depth=1
	s_and_b64 vcc, exec, s[34:35]
	s_cbranch_vccz .LBB11_48
; %bb.31:                               ;   in Loop: Header=BB11_9 Depth=1
	s_mov_b32 s16, 0
	s_mov_b64 s[56:57], 0
	s_mov_b32 s13, s16
                                        ; implicit-def: $sgpr6_sgpr7
	s_branch .LBB11_33
.LBB11_32:                              ;   in Loop: Header=BB11_33 Depth=2
	s_or_b64 exec, exec, s[62:63]
	s_xor_b64 s[4:5], s[4:5], -1
	s_and_b64 s[58:59], exec, s[58:59]
	s_or_b64 s[56:57], s[58:59], s[56:57]
	s_andn2_b64 s[6:7], s[6:7], exec
	s_and_b64 s[4:5], s[4:5], exec
	s_or_b64 s[6:7], s[6:7], s[4:5]
	s_andn2_b64 exec, exec, s[56:57]
	s_cbranch_execz .LBB11_43
.LBB11_33:                              ;   Parent Loop BB11_9 Depth=1
                                        ; =>  This Loop Header: Depth=2
                                        ;       Child Loop BB11_37 Depth 3
	s_mov_b64 s[58:59], -1
	s_andn2_b64 vcc, exec, s[30:31]
	s_mov_b64 s[60:61], -1
                                        ; implicit-def: $vgpr17
	s_cbranch_vccnz .LBB11_41
; %bb.34:                               ;   in Loop: Header=BB11_33 Depth=2
	s_lshl_b64 s[64:65], s[16:17], 4
	s_mov_b64 s[62:63], 0
	s_mov_b32 s19, s21
                                        ; implicit-def: $sgpr60_sgpr61
                                        ; implicit-def: $sgpr66_sgpr67
                                        ; implicit-def: $sgpr68_sgpr69
	s_branch .LBB11_37
.LBB11_35:                              ;   in Loop: Header=BB11_37 Depth=3
	s_or_b64 exec, exec, s[74:75]
	s_andn2_b64 s[68:69], s[68:69], exec
	s_and_b64 s[72:73], s[72:73], exec
	s_andn2_b64 s[66:67], s[66:67], exec
	s_and_b64 s[70:71], s[70:71], exec
	v_mov_b32_e32 v17, 2
	s_or_b64 s[68:69], s[68:69], s[72:73]
	s_or_b64 s[66:67], s[66:67], s[70:71]
.LBB11_36:                              ;   in Loop: Header=BB11_37 Depth=3
	s_or_b64 exec, exec, s[4:5]
	s_xor_b64 s[4:5], s[68:69], -1
	s_and_b64 s[70:71], exec, s[66:67]
	s_or_b64 s[62:63], s[70:71], s[62:63]
	s_andn2_b64 s[60:61], s[60:61], exec
	s_and_b64 s[4:5], s[4:5], exec
	s_or_b64 s[60:61], s[60:61], s[4:5]
	s_andn2_b64 exec, exec, s[62:63]
	s_cbranch_execz .LBB11_40
.LBB11_37:                              ;   Parent Loop BB11_9 Depth=1
                                        ;     Parent Loop BB11_33 Depth=2
                                        ; =>    This Inner Loop Header: Depth=3
	v_lshl_add_u64 v[0:1], v[10:11], 0, s[64:65]
	global_load_dwordx4 v[0:3], v[0:1], off
	v_mov_b32_e32 v17, 1
	s_or_b64 s[68:69], s[68:69], exec
	s_or_b64 s[66:67], s[66:67], exec
	s_waitcnt vmcnt(0)
	v_cmp_neq_f64_e32 vcc, s[42:43], v[0:1]
	v_cmp_neq_f64_e64 s[4:5], s[42:43], v[2:3]
	s_and_b64 s[4:5], vcc, s[4:5]
	s_and_saveexec_b64 s[70:71], s[4:5]
	s_xor_b64 s[4:5], exec, s[70:71]
	s_cbranch_execz .LBB11_36
; %bb.38:                               ;   in Loop: Header=BB11_37 Depth=3
	v_cmp_o_f64_e32 vcc, v[0:1], v[2:3]
	s_mov_b64 s[70:71], -1
	s_mov_b64 s[72:73], -1
	s_and_saveexec_b64 s[74:75], vcc
	s_cbranch_execz .LBB11_35
; %bb.39:                               ;   in Loop: Header=BB11_37 Depth=3
	s_add_i32 s19, s19, -1
	s_add_u32 s64, s64, 16
	s_addc_u32 s65, s65, 0
	s_cmp_eq_u32 s19, 0
	s_cselect_b64 s[70:71], -1, 0
	s_xor_b64 s[72:73], exec, -1
	s_orn2_b64 s[70:71], s[70:71], exec
	s_branch .LBB11_35
.LBB11_40:                              ;   in Loop: Header=BB11_33 Depth=2
	s_or_b64 exec, exec, s[62:63]
.LBB11_41:                              ;   in Loop: Header=BB11_33 Depth=2
	s_mov_b64 s[4:5], -1
	s_and_saveexec_b64 s[62:63], s[60:61]
	s_cbranch_execz .LBB11_32
; %bb.42:                               ;   in Loop: Header=BB11_33 Depth=2
	s_add_i32 s13, s13, 1
	s_add_i32 s16, s16, s21
	s_cmp_eq_u32 s13, s20
	s_cselect_b64 s[58:59], -1, 0
	s_xor_b64 s[4:5], exec, -1
	s_orn2_b64 s[58:59], s[58:59], exec
	s_branch .LBB11_32
.LBB11_43:                              ;   in Loop: Header=BB11_9 Depth=1
	s_or_b64 exec, exec, s[56:57]
.LBB11_44:                              ;   in Loop: Header=BB11_9 Depth=1
	s_mov_b64 s[4:5], -1
	s_mov_b64 s[58:59], -1
	s_and_saveexec_b64 s[56:57], s[6:7]
	s_cbranch_execz .LBB11_6
.LBB11_45:                              ;   in Loop: Header=BB11_9 Depth=1
	s_and_b64 vcc, exec, s[36:37]
	s_cbranch_vccz .LBB11_49
; %bb.46:                               ;   in Loop: Header=BB11_9 Depth=1
	s_and_b64 vcc, exec, s[38:39]
	s_cbranch_vccz .LBB11_50
; %bb.47:                               ;   in Loop: Header=BB11_9 Depth=1
	v_cmp_le_u32_e32 vcc, v4, v16
	v_mov_b32_e32 v17, 7
	s_and_b64 s[6:7], vcc, exec
	s_cbranch_execz .LBB11_51
	s_branch .LBB11_52
.LBB11_48:                              ;   in Loop: Header=BB11_9 Depth=1
	s_mov_b64 s[6:7], -1
	s_mov_b64 s[4:5], -1
	;; [unrolled: 1-line block ×3, first 2 shown]
	s_and_saveexec_b64 s[56:57], s[6:7]
	s_cbranch_execz .LBB11_6
	s_branch .LBB11_45
.LBB11_49:                              ;   in Loop: Header=BB11_9 Depth=1
	s_mov_b64 s[6:7], -1
	s_branch .LBB11_52
.LBB11_50:                              ;   in Loop: Header=BB11_9 Depth=1
	s_mov_b64 s[6:7], 0
	s_andn2_b64 vcc, exec, s[58:59]
	s_cbranch_vccnz .LBB11_52
.LBB11_51:                              ;   in Loop: Header=BB11_9 Depth=1
	v_cmp_ge_u32_e32 vcc, v4, v16
	s_andn2_b64 s[6:7], s[6:7], exec
	s_and_b64 s[58:59], vcc, exec
	v_mov_b32_e32 v17, 7
	s_or_b64 s[6:7], s[6:7], s[58:59]
.LBB11_52:                              ;   in Loop: Header=BB11_9 Depth=1
	s_mov_b64 s[60:61], -1
	s_and_saveexec_b64 s[58:59], s[6:7]
	s_cbranch_execz .LBB11_5
; %bb.53:                               ;   in Loop: Header=BB11_9 Depth=1
	s_or_b64 s[54:55], s[14:15], s[54:55]
	s_xor_b64 s[4:5], s[54:55], -1
	s_and_saveexec_b64 s[60:61], s[4:5]
	s_cbranch_execz .LBB11_55
; %bb.54:                               ;   in Loop: Header=BB11_9 Depth=1
	global_load_dword v0, v[14:15], off offset:-4
	v_mov_b32_e32 v17, 6
	s_waitcnt vmcnt(0)
	v_subrev_u32_e32 v1, s12, v0
	v_cmp_lt_i32_e64 s[4:5], -1, v1
	v_cmp_gt_i32_e64 s[6:7], s18, v1
	s_and_b64 s[4:5], s[4:5], s[6:7]
	v_cmp_gt_i32_e32 vcc, v5, v0
	s_xor_b64 s[4:5], s[4:5], -1
	s_or_b64 s[4:5], vcc, s[4:5]
	s_andn2_b64 s[6:7], s[54:55], exec
	s_and_b64 s[4:5], s[4:5], exec
	s_or_b64 s[54:55], s[6:7], s[4:5]
.LBB11_55:                              ;   in Loop: Header=BB11_9 Depth=1
	s_or_b64 exec, exec, s[60:61]
	s_mov_b64 s[4:5], -1
	s_mov_b64 s[6:7], -1
	s_and_saveexec_b64 s[60:61], s[54:55]
	s_cbranch_execz .LBB11_4
; %bb.56:                               ;   in Loop: Header=BB11_9 Depth=1
	v_lshl_add_u64 v[12:13], v[12:13], 0, 1
	v_cmp_ge_i64_e32 vcc, v[12:13], v[8:9]
	v_lshl_add_u64 v[10:11], v[10:11], 0, s[40:41]
	s_xor_b64 s[6:7], exec, -1
	s_orn2_b64 s[4:5], vcc, exec
	s_branch .LBB11_4
.LBB11_57:
	s_or_b64 exec, exec, s[22:23]
	s_and_b64 s[6:7], s[44:45], exec
.LBB11_58:
	s_or_b64 exec, exec, s[26:27]
	s_orn2_b64 s[8:9], s[6:7], exec
.LBB11_59:
	s_or_b64 exec, exec, s[24:25]
	s_and_b64 exec, exec, s[8:9]
	s_cbranch_execz .LBB11_61
; %bb.60:
	s_load_dwordx2 s[0:1], s[0:1], 0x50
	v_mov_b32_e32 v0, 0
	s_waitcnt lgkmcnt(0)
	global_store_dword v0, v17, s[0:1]
.LBB11_61:
	s_endpgm
	.section	.rodata,"a",@progbits
	.p2align	6, 0x0
	.amdhsa_kernel _ZN9rocsparseL25check_matrix_gebsr_deviceILj256E21rocsparse_complex_numIdEliEEv20rocsparse_direction_T2_S4_T1_S4_S4_PKT0_PKS5_PKS4_SC_21rocsparse_index_base_22rocsparse_matrix_type_20rocsparse_fill_mode_23rocsparse_storage_mode_P22rocsparse_data_status_
		.amdhsa_group_segment_fixed_size 0
		.amdhsa_private_segment_fixed_size 0
		.amdhsa_kernarg_size 88
		.amdhsa_user_sgpr_count 2
		.amdhsa_user_sgpr_dispatch_ptr 0
		.amdhsa_user_sgpr_queue_ptr 0
		.amdhsa_user_sgpr_kernarg_segment_ptr 1
		.amdhsa_user_sgpr_dispatch_id 0
		.amdhsa_user_sgpr_kernarg_preload_length 0
		.amdhsa_user_sgpr_kernarg_preload_offset 0
		.amdhsa_user_sgpr_private_segment_size 0
		.amdhsa_uses_dynamic_stack 0
		.amdhsa_enable_private_segment 0
		.amdhsa_system_sgpr_workgroup_id_x 1
		.amdhsa_system_sgpr_workgroup_id_y 0
		.amdhsa_system_sgpr_workgroup_id_z 0
		.amdhsa_system_sgpr_workgroup_info 0
		.amdhsa_system_vgpr_workitem_id 0
		.amdhsa_next_free_vgpr 18
		.amdhsa_next_free_sgpr 76
		.amdhsa_accum_offset 20
		.amdhsa_reserve_vcc 1
		.amdhsa_float_round_mode_32 0
		.amdhsa_float_round_mode_16_64 0
		.amdhsa_float_denorm_mode_32 3
		.amdhsa_float_denorm_mode_16_64 3
		.amdhsa_dx10_clamp 1
		.amdhsa_ieee_mode 1
		.amdhsa_fp16_overflow 0
		.amdhsa_tg_split 0
		.amdhsa_exception_fp_ieee_invalid_op 0
		.amdhsa_exception_fp_denorm_src 0
		.amdhsa_exception_fp_ieee_div_zero 0
		.amdhsa_exception_fp_ieee_overflow 0
		.amdhsa_exception_fp_ieee_underflow 0
		.amdhsa_exception_fp_ieee_inexact 0
		.amdhsa_exception_int_div_zero 0
	.end_amdhsa_kernel
	.section	.text._ZN9rocsparseL25check_matrix_gebsr_deviceILj256E21rocsparse_complex_numIdEliEEv20rocsparse_direction_T2_S4_T1_S4_S4_PKT0_PKS5_PKS4_SC_21rocsparse_index_base_22rocsparse_matrix_type_20rocsparse_fill_mode_23rocsparse_storage_mode_P22rocsparse_data_status_,"axG",@progbits,_ZN9rocsparseL25check_matrix_gebsr_deviceILj256E21rocsparse_complex_numIdEliEEv20rocsparse_direction_T2_S4_T1_S4_S4_PKT0_PKS5_PKS4_SC_21rocsparse_index_base_22rocsparse_matrix_type_20rocsparse_fill_mode_23rocsparse_storage_mode_P22rocsparse_data_status_,comdat
.Lfunc_end11:
	.size	_ZN9rocsparseL25check_matrix_gebsr_deviceILj256E21rocsparse_complex_numIdEliEEv20rocsparse_direction_T2_S4_T1_S4_S4_PKT0_PKS5_PKS4_SC_21rocsparse_index_base_22rocsparse_matrix_type_20rocsparse_fill_mode_23rocsparse_storage_mode_P22rocsparse_data_status_, .Lfunc_end11-_ZN9rocsparseL25check_matrix_gebsr_deviceILj256E21rocsparse_complex_numIdEliEEv20rocsparse_direction_T2_S4_T1_S4_S4_PKT0_PKS5_PKS4_SC_21rocsparse_index_base_22rocsparse_matrix_type_20rocsparse_fill_mode_23rocsparse_storage_mode_P22rocsparse_data_status_
                                        ; -- End function
	.set _ZN9rocsparseL25check_matrix_gebsr_deviceILj256E21rocsparse_complex_numIdEliEEv20rocsparse_direction_T2_S4_T1_S4_S4_PKT0_PKS5_PKS4_SC_21rocsparse_index_base_22rocsparse_matrix_type_20rocsparse_fill_mode_23rocsparse_storage_mode_P22rocsparse_data_status_.num_vgpr, 18
	.set _ZN9rocsparseL25check_matrix_gebsr_deviceILj256E21rocsparse_complex_numIdEliEEv20rocsparse_direction_T2_S4_T1_S4_S4_PKT0_PKS5_PKS4_SC_21rocsparse_index_base_22rocsparse_matrix_type_20rocsparse_fill_mode_23rocsparse_storage_mode_P22rocsparse_data_status_.num_agpr, 0
	.set _ZN9rocsparseL25check_matrix_gebsr_deviceILj256E21rocsparse_complex_numIdEliEEv20rocsparse_direction_T2_S4_T1_S4_S4_PKT0_PKS5_PKS4_SC_21rocsparse_index_base_22rocsparse_matrix_type_20rocsparse_fill_mode_23rocsparse_storage_mode_P22rocsparse_data_status_.numbered_sgpr, 76
	.set _ZN9rocsparseL25check_matrix_gebsr_deviceILj256E21rocsparse_complex_numIdEliEEv20rocsparse_direction_T2_S4_T1_S4_S4_PKT0_PKS5_PKS4_SC_21rocsparse_index_base_22rocsparse_matrix_type_20rocsparse_fill_mode_23rocsparse_storage_mode_P22rocsparse_data_status_.num_named_barrier, 0
	.set _ZN9rocsparseL25check_matrix_gebsr_deviceILj256E21rocsparse_complex_numIdEliEEv20rocsparse_direction_T2_S4_T1_S4_S4_PKT0_PKS5_PKS4_SC_21rocsparse_index_base_22rocsparse_matrix_type_20rocsparse_fill_mode_23rocsparse_storage_mode_P22rocsparse_data_status_.private_seg_size, 0
	.set _ZN9rocsparseL25check_matrix_gebsr_deviceILj256E21rocsparse_complex_numIdEliEEv20rocsparse_direction_T2_S4_T1_S4_S4_PKT0_PKS5_PKS4_SC_21rocsparse_index_base_22rocsparse_matrix_type_20rocsparse_fill_mode_23rocsparse_storage_mode_P22rocsparse_data_status_.uses_vcc, 1
	.set _ZN9rocsparseL25check_matrix_gebsr_deviceILj256E21rocsparse_complex_numIdEliEEv20rocsparse_direction_T2_S4_T1_S4_S4_PKT0_PKS5_PKS4_SC_21rocsparse_index_base_22rocsparse_matrix_type_20rocsparse_fill_mode_23rocsparse_storage_mode_P22rocsparse_data_status_.uses_flat_scratch, 0
	.set _ZN9rocsparseL25check_matrix_gebsr_deviceILj256E21rocsparse_complex_numIdEliEEv20rocsparse_direction_T2_S4_T1_S4_S4_PKT0_PKS5_PKS4_SC_21rocsparse_index_base_22rocsparse_matrix_type_20rocsparse_fill_mode_23rocsparse_storage_mode_P22rocsparse_data_status_.has_dyn_sized_stack, 0
	.set _ZN9rocsparseL25check_matrix_gebsr_deviceILj256E21rocsparse_complex_numIdEliEEv20rocsparse_direction_T2_S4_T1_S4_S4_PKT0_PKS5_PKS4_SC_21rocsparse_index_base_22rocsparse_matrix_type_20rocsparse_fill_mode_23rocsparse_storage_mode_P22rocsparse_data_status_.has_recursion, 0
	.set _ZN9rocsparseL25check_matrix_gebsr_deviceILj256E21rocsparse_complex_numIdEliEEv20rocsparse_direction_T2_S4_T1_S4_S4_PKT0_PKS5_PKS4_SC_21rocsparse_index_base_22rocsparse_matrix_type_20rocsparse_fill_mode_23rocsparse_storage_mode_P22rocsparse_data_status_.has_indirect_call, 0
	.section	.AMDGPU.csdata,"",@progbits
; Kernel info:
; codeLenInByte = 1604
; TotalNumSgprs: 82
; NumVgprs: 18
; NumAgprs: 0
; TotalNumVgprs: 18
; ScratchSize: 0
; MemoryBound: 0
; FloatMode: 240
; IeeeMode: 1
; LDSByteSize: 0 bytes/workgroup (compile time only)
; SGPRBlocks: 10
; VGPRBlocks: 2
; NumSGPRsForWavesPerEU: 82
; NumVGPRsForWavesPerEU: 18
; AccumOffset: 20
; Occupancy: 8
; WaveLimiterHint : 0
; COMPUTE_PGM_RSRC2:SCRATCH_EN: 0
; COMPUTE_PGM_RSRC2:USER_SGPR: 2
; COMPUTE_PGM_RSRC2:TRAP_HANDLER: 0
; COMPUTE_PGM_RSRC2:TGID_X_EN: 1
; COMPUTE_PGM_RSRC2:TGID_Y_EN: 0
; COMPUTE_PGM_RSRC2:TGID_Z_EN: 0
; COMPUTE_PGM_RSRC2:TIDIG_COMP_CNT: 0
; COMPUTE_PGM_RSRC3_GFX90A:ACCUM_OFFSET: 4
; COMPUTE_PGM_RSRC3_GFX90A:TG_SPLIT: 0
	.section	.text._ZN9rocsparseL19check_row_ptr_arrayILj256EllEEvT1_PKT0_P22rocsparse_data_status_,"axG",@progbits,_ZN9rocsparseL19check_row_ptr_arrayILj256EllEEvT1_PKT0_P22rocsparse_data_status_,comdat
	.globl	_ZN9rocsparseL19check_row_ptr_arrayILj256EllEEvT1_PKT0_P22rocsparse_data_status_ ; -- Begin function _ZN9rocsparseL19check_row_ptr_arrayILj256EllEEvT1_PKT0_P22rocsparse_data_status_
	.p2align	8
	.type	_ZN9rocsparseL19check_row_ptr_arrayILj256EllEEvT1_PKT0_P22rocsparse_data_status_,@function
_ZN9rocsparseL19check_row_ptr_arrayILj256EllEEvT1_PKT0_P22rocsparse_data_status_: ; @_ZN9rocsparseL19check_row_ptr_arrayILj256EllEEvT1_PKT0_P22rocsparse_data_status_
; %bb.0:
	s_load_dwordx2 s[4:5], s[0:1], 0x0
	v_lshl_or_b32 v0, s2, 8, v0
	v_mov_b32_e32 v1, 0
	s_waitcnt lgkmcnt(0)
	v_cmp_gt_i64_e32 vcc, s[4:5], v[0:1]
	s_and_saveexec_b64 s[2:3], vcc
	s_cbranch_execz .LBB12_3
; %bb.1:
	s_load_dwordx2 s[2:3], s[0:1], 0x8
	s_waitcnt lgkmcnt(0)
	v_lshl_add_u64 v[0:1], v[0:1], 3, s[2:3]
	global_load_dwordx4 v[0:3], v[0:1], off
	s_load_dwordx2 s[2:3], s[2:3], 0x0
	s_waitcnt vmcnt(0) lgkmcnt(0)
	v_cmp_gt_i64_e32 vcc, s[2:3], v[0:1]
	v_cmp_gt_i64_e64 s[2:3], s[2:3], v[2:3]
	v_cmp_lt_i64_e64 s[4:5], v[2:3], v[0:1]
	s_or_b64 s[2:3], s[2:3], s[4:5]
	s_or_b64 s[2:3], vcc, s[2:3]
	s_and_b64 exec, exec, s[2:3]
	s_cbranch_execz .LBB12_3
; %bb.2:
	s_load_dwordx2 s[0:1], s[0:1], 0x10
	v_mov_b32_e32 v0, 0
	v_mov_b32_e32 v1, 3
	s_waitcnt lgkmcnt(0)
	global_store_dword v0, v1, s[0:1]
.LBB12_3:
	s_endpgm
	.section	.rodata,"a",@progbits
	.p2align	6, 0x0
	.amdhsa_kernel _ZN9rocsparseL19check_row_ptr_arrayILj256EllEEvT1_PKT0_P22rocsparse_data_status_
		.amdhsa_group_segment_fixed_size 0
		.amdhsa_private_segment_fixed_size 0
		.amdhsa_kernarg_size 24
		.amdhsa_user_sgpr_count 2
		.amdhsa_user_sgpr_dispatch_ptr 0
		.amdhsa_user_sgpr_queue_ptr 0
		.amdhsa_user_sgpr_kernarg_segment_ptr 1
		.amdhsa_user_sgpr_dispatch_id 0
		.amdhsa_user_sgpr_kernarg_preload_length 0
		.amdhsa_user_sgpr_kernarg_preload_offset 0
		.amdhsa_user_sgpr_private_segment_size 0
		.amdhsa_uses_dynamic_stack 0
		.amdhsa_enable_private_segment 0
		.amdhsa_system_sgpr_workgroup_id_x 1
		.amdhsa_system_sgpr_workgroup_id_y 0
		.amdhsa_system_sgpr_workgroup_id_z 0
		.amdhsa_system_sgpr_workgroup_info 0
		.amdhsa_system_vgpr_workitem_id 0
		.amdhsa_next_free_vgpr 4
		.amdhsa_next_free_sgpr 6
		.amdhsa_accum_offset 4
		.amdhsa_reserve_vcc 1
		.amdhsa_float_round_mode_32 0
		.amdhsa_float_round_mode_16_64 0
		.amdhsa_float_denorm_mode_32 3
		.amdhsa_float_denorm_mode_16_64 3
		.amdhsa_dx10_clamp 1
		.amdhsa_ieee_mode 1
		.amdhsa_fp16_overflow 0
		.amdhsa_tg_split 0
		.amdhsa_exception_fp_ieee_invalid_op 0
		.amdhsa_exception_fp_denorm_src 0
		.amdhsa_exception_fp_ieee_div_zero 0
		.amdhsa_exception_fp_ieee_overflow 0
		.amdhsa_exception_fp_ieee_underflow 0
		.amdhsa_exception_fp_ieee_inexact 0
		.amdhsa_exception_int_div_zero 0
	.end_amdhsa_kernel
	.section	.text._ZN9rocsparseL19check_row_ptr_arrayILj256EllEEvT1_PKT0_P22rocsparse_data_status_,"axG",@progbits,_ZN9rocsparseL19check_row_ptr_arrayILj256EllEEvT1_PKT0_P22rocsparse_data_status_,comdat
.Lfunc_end12:
	.size	_ZN9rocsparseL19check_row_ptr_arrayILj256EllEEvT1_PKT0_P22rocsparse_data_status_, .Lfunc_end12-_ZN9rocsparseL19check_row_ptr_arrayILj256EllEEvT1_PKT0_P22rocsparse_data_status_
                                        ; -- End function
	.set _ZN9rocsparseL19check_row_ptr_arrayILj256EllEEvT1_PKT0_P22rocsparse_data_status_.num_vgpr, 4
	.set _ZN9rocsparseL19check_row_ptr_arrayILj256EllEEvT1_PKT0_P22rocsparse_data_status_.num_agpr, 0
	.set _ZN9rocsparseL19check_row_ptr_arrayILj256EllEEvT1_PKT0_P22rocsparse_data_status_.numbered_sgpr, 6
	.set _ZN9rocsparseL19check_row_ptr_arrayILj256EllEEvT1_PKT0_P22rocsparse_data_status_.num_named_barrier, 0
	.set _ZN9rocsparseL19check_row_ptr_arrayILj256EllEEvT1_PKT0_P22rocsparse_data_status_.private_seg_size, 0
	.set _ZN9rocsparseL19check_row_ptr_arrayILj256EllEEvT1_PKT0_P22rocsparse_data_status_.uses_vcc, 1
	.set _ZN9rocsparseL19check_row_ptr_arrayILj256EllEEvT1_PKT0_P22rocsparse_data_status_.uses_flat_scratch, 0
	.set _ZN9rocsparseL19check_row_ptr_arrayILj256EllEEvT1_PKT0_P22rocsparse_data_status_.has_dyn_sized_stack, 0
	.set _ZN9rocsparseL19check_row_ptr_arrayILj256EllEEvT1_PKT0_P22rocsparse_data_status_.has_recursion, 0
	.set _ZN9rocsparseL19check_row_ptr_arrayILj256EllEEvT1_PKT0_P22rocsparse_data_status_.has_indirect_call, 0
	.section	.AMDGPU.csdata,"",@progbits
; Kernel info:
; codeLenInByte = 144
; TotalNumSgprs: 12
; NumVgprs: 4
; NumAgprs: 0
; TotalNumVgprs: 4
; ScratchSize: 0
; MemoryBound: 0
; FloatMode: 240
; IeeeMode: 1
; LDSByteSize: 0 bytes/workgroup (compile time only)
; SGPRBlocks: 1
; VGPRBlocks: 0
; NumSGPRsForWavesPerEU: 12
; NumVGPRsForWavesPerEU: 4
; AccumOffset: 4
; Occupancy: 8
; WaveLimiterHint : 0
; COMPUTE_PGM_RSRC2:SCRATCH_EN: 0
; COMPUTE_PGM_RSRC2:USER_SGPR: 2
; COMPUTE_PGM_RSRC2:TRAP_HANDLER: 0
; COMPUTE_PGM_RSRC2:TGID_X_EN: 1
; COMPUTE_PGM_RSRC2:TGID_Y_EN: 0
; COMPUTE_PGM_RSRC2:TGID_Z_EN: 0
; COMPUTE_PGM_RSRC2:TIDIG_COMP_CNT: 0
; COMPUTE_PGM_RSRC3_GFX90A:ACCUM_OFFSET: 0
; COMPUTE_PGM_RSRC3_GFX90A:TG_SPLIT: 0
	.section	.text._ZN9rocsparseL20shift_offsets_kernelILj512EllEEvT1_PKT0_PS2_,"axG",@progbits,_ZN9rocsparseL20shift_offsets_kernelILj512EllEEvT1_PKT0_PS2_,comdat
	.globl	_ZN9rocsparseL20shift_offsets_kernelILj512EllEEvT1_PKT0_PS2_ ; -- Begin function _ZN9rocsparseL20shift_offsets_kernelILj512EllEEvT1_PKT0_PS2_
	.p2align	8
	.type	_ZN9rocsparseL20shift_offsets_kernelILj512EllEEvT1_PKT0_PS2_,@function
_ZN9rocsparseL20shift_offsets_kernelILj512EllEEvT1_PKT0_PS2_: ; @_ZN9rocsparseL20shift_offsets_kernelILj512EllEEvT1_PKT0_PS2_
; %bb.0:
	s_load_dwordx2 s[4:5], s[0:1], 0x0
	v_lshl_or_b32 v0, s2, 9, v0
	v_mov_b32_e32 v1, 0
	s_waitcnt lgkmcnt(0)
	v_cmp_gt_i64_e32 vcc, s[4:5], v[0:1]
	s_and_saveexec_b64 s[2:3], vcc
	s_cbranch_execz .LBB13_2
; %bb.1:
	s_load_dwordx4 s[4:7], s[0:1], 0x8
	v_lshlrev_b64 v[0:1], 3, v[0:1]
	s_waitcnt lgkmcnt(0)
	v_lshl_add_u64 v[2:3], s[4:5], 0, v[0:1]
	global_load_dwordx2 v[2:3], v[2:3], off
	s_load_dwordx2 s[0:1], s[4:5], 0x0
	v_lshl_add_u64 v[0:1], s[6:7], 0, v[0:1]
	s_waitcnt lgkmcnt(0)
	v_mov_b32_e32 v4, s1
	s_waitcnt vmcnt(0)
	v_subrev_co_u32_e32 v2, vcc, s0, v2
	s_nop 1
	v_subb_co_u32_e32 v3, vcc, v3, v4, vcc
	global_store_dwordx2 v[0:1], v[2:3], off
.LBB13_2:
	s_endpgm
	.section	.rodata,"a",@progbits
	.p2align	6, 0x0
	.amdhsa_kernel _ZN9rocsparseL20shift_offsets_kernelILj512EllEEvT1_PKT0_PS2_
		.amdhsa_group_segment_fixed_size 0
		.amdhsa_private_segment_fixed_size 0
		.amdhsa_kernarg_size 24
		.amdhsa_user_sgpr_count 2
		.amdhsa_user_sgpr_dispatch_ptr 0
		.amdhsa_user_sgpr_queue_ptr 0
		.amdhsa_user_sgpr_kernarg_segment_ptr 1
		.amdhsa_user_sgpr_dispatch_id 0
		.amdhsa_user_sgpr_kernarg_preload_length 0
		.amdhsa_user_sgpr_kernarg_preload_offset 0
		.amdhsa_user_sgpr_private_segment_size 0
		.amdhsa_uses_dynamic_stack 0
		.amdhsa_enable_private_segment 0
		.amdhsa_system_sgpr_workgroup_id_x 1
		.amdhsa_system_sgpr_workgroup_id_y 0
		.amdhsa_system_sgpr_workgroup_id_z 0
		.amdhsa_system_sgpr_workgroup_info 0
		.amdhsa_system_vgpr_workitem_id 0
		.amdhsa_next_free_vgpr 5
		.amdhsa_next_free_sgpr 8
		.amdhsa_accum_offset 8
		.amdhsa_reserve_vcc 1
		.amdhsa_float_round_mode_32 0
		.amdhsa_float_round_mode_16_64 0
		.amdhsa_float_denorm_mode_32 3
		.amdhsa_float_denorm_mode_16_64 3
		.amdhsa_dx10_clamp 1
		.amdhsa_ieee_mode 1
		.amdhsa_fp16_overflow 0
		.amdhsa_tg_split 0
		.amdhsa_exception_fp_ieee_invalid_op 0
		.amdhsa_exception_fp_denorm_src 0
		.amdhsa_exception_fp_ieee_div_zero 0
		.amdhsa_exception_fp_ieee_overflow 0
		.amdhsa_exception_fp_ieee_underflow 0
		.amdhsa_exception_fp_ieee_inexact 0
		.amdhsa_exception_int_div_zero 0
	.end_amdhsa_kernel
	.section	.text._ZN9rocsparseL20shift_offsets_kernelILj512EllEEvT1_PKT0_PS2_,"axG",@progbits,_ZN9rocsparseL20shift_offsets_kernelILj512EllEEvT1_PKT0_PS2_,comdat
.Lfunc_end13:
	.size	_ZN9rocsparseL20shift_offsets_kernelILj512EllEEvT1_PKT0_PS2_, .Lfunc_end13-_ZN9rocsparseL20shift_offsets_kernelILj512EllEEvT1_PKT0_PS2_
                                        ; -- End function
	.set _ZN9rocsparseL20shift_offsets_kernelILj512EllEEvT1_PKT0_PS2_.num_vgpr, 5
	.set _ZN9rocsparseL20shift_offsets_kernelILj512EllEEvT1_PKT0_PS2_.num_agpr, 0
	.set _ZN9rocsparseL20shift_offsets_kernelILj512EllEEvT1_PKT0_PS2_.numbered_sgpr, 8
	.set _ZN9rocsparseL20shift_offsets_kernelILj512EllEEvT1_PKT0_PS2_.num_named_barrier, 0
	.set _ZN9rocsparseL20shift_offsets_kernelILj512EllEEvT1_PKT0_PS2_.private_seg_size, 0
	.set _ZN9rocsparseL20shift_offsets_kernelILj512EllEEvT1_PKT0_PS2_.uses_vcc, 1
	.set _ZN9rocsparseL20shift_offsets_kernelILj512EllEEvT1_PKT0_PS2_.uses_flat_scratch, 0
	.set _ZN9rocsparseL20shift_offsets_kernelILj512EllEEvT1_PKT0_PS2_.has_dyn_sized_stack, 0
	.set _ZN9rocsparseL20shift_offsets_kernelILj512EllEEvT1_PKT0_PS2_.has_recursion, 0
	.set _ZN9rocsparseL20shift_offsets_kernelILj512EllEEvT1_PKT0_PS2_.has_indirect_call, 0
	.section	.AMDGPU.csdata,"",@progbits
; Kernel info:
; codeLenInByte = 124
; TotalNumSgprs: 14
; NumVgprs: 5
; NumAgprs: 0
; TotalNumVgprs: 5
; ScratchSize: 0
; MemoryBound: 1
; FloatMode: 240
; IeeeMode: 1
; LDSByteSize: 0 bytes/workgroup (compile time only)
; SGPRBlocks: 1
; VGPRBlocks: 0
; NumSGPRsForWavesPerEU: 14
; NumVGPRsForWavesPerEU: 5
; AccumOffset: 8
; Occupancy: 8
; WaveLimiterHint : 0
; COMPUTE_PGM_RSRC2:SCRATCH_EN: 0
; COMPUTE_PGM_RSRC2:USER_SGPR: 2
; COMPUTE_PGM_RSRC2:TRAP_HANDLER: 0
; COMPUTE_PGM_RSRC2:TGID_X_EN: 1
; COMPUTE_PGM_RSRC2:TGID_Y_EN: 0
; COMPUTE_PGM_RSRC2:TGID_Z_EN: 0
; COMPUTE_PGM_RSRC2:TIDIG_COMP_CNT: 0
; COMPUTE_PGM_RSRC3_GFX90A:ACCUM_OFFSET: 1
; COMPUTE_PGM_RSRC3_GFX90A:TG_SPLIT: 0
	.section	.text._ZN9rocsparseL25check_matrix_gebsr_deviceILj256EfllEEv20rocsparse_direction_T2_S2_T1_S2_S2_PKT0_PKS3_PKS2_SA_21rocsparse_index_base_22rocsparse_matrix_type_20rocsparse_fill_mode_23rocsparse_storage_mode_P22rocsparse_data_status_,"axG",@progbits,_ZN9rocsparseL25check_matrix_gebsr_deviceILj256EfllEEv20rocsparse_direction_T2_S2_T1_S2_S2_PKT0_PKS3_PKS2_SA_21rocsparse_index_base_22rocsparse_matrix_type_20rocsparse_fill_mode_23rocsparse_storage_mode_P22rocsparse_data_status_,comdat
	.globl	_ZN9rocsparseL25check_matrix_gebsr_deviceILj256EfllEEv20rocsparse_direction_T2_S2_T1_S2_S2_PKT0_PKS3_PKS2_SA_21rocsparse_index_base_22rocsparse_matrix_type_20rocsparse_fill_mode_23rocsparse_storage_mode_P22rocsparse_data_status_ ; -- Begin function _ZN9rocsparseL25check_matrix_gebsr_deviceILj256EfllEEv20rocsparse_direction_T2_S2_T1_S2_S2_PKT0_PKS3_PKS2_SA_21rocsparse_index_base_22rocsparse_matrix_type_20rocsparse_fill_mode_23rocsparse_storage_mode_P22rocsparse_data_status_
	.p2align	8
	.type	_ZN9rocsparseL25check_matrix_gebsr_deviceILj256EfllEEv20rocsparse_direction_T2_S2_T1_S2_S2_PKT0_PKS3_PKS2_SA_21rocsparse_index_base_22rocsparse_matrix_type_20rocsparse_fill_mode_23rocsparse_storage_mode_P22rocsparse_data_status_,@function
_ZN9rocsparseL25check_matrix_gebsr_deviceILj256EfllEEv20rocsparse_direction_T2_S2_T1_S2_S2_PKT0_PKS3_PKS2_SA_21rocsparse_index_base_22rocsparse_matrix_type_20rocsparse_fill_mode_23rocsparse_storage_mode_P22rocsparse_data_status_: ; @_ZN9rocsparseL25check_matrix_gebsr_deviceILj256EfllEEv20rocsparse_direction_T2_S2_T1_S2_S2_PKT0_PKS3_PKS2_SA_21rocsparse_index_base_22rocsparse_matrix_type_20rocsparse_fill_mode_23rocsparse_storage_mode_P22rocsparse_data_status_
; %bb.0:
	s_load_dwordx4 s[4:7], s[0:1], 0x8
	v_lshl_or_b32 v4, s2, 8, v0
	v_mov_b32_e32 v5, 0
	s_waitcnt lgkmcnt(0)
	v_cmp_gt_i64_e32 vcc, s[4:5], v[4:5]
	s_and_saveexec_b64 s[2:3], vcc
	s_cbranch_execz .LBB14_60
; %bb.1:
	s_load_dwordx2 s[2:3], s[0:1], 0x38
	v_mov_b32_e32 v21, 3
	s_mov_b64 s[10:11], -1
	s_mov_b64 s[8:9], 0
	s_waitcnt lgkmcnt(0)
	v_lshl_add_u64 v[0:1], v[4:5], 3, s[2:3]
	global_load_dwordx4 v[0:3], v[0:1], off
	s_load_dwordx2 s[2:3], s[2:3], 0x0
	s_waitcnt lgkmcnt(0)
	v_mov_b32_e32 v9, s3
	s_waitcnt vmcnt(0)
	v_subrev_co_u32_e32 v6, vcc, s2, v0
	s_nop 1
	v_subb_co_u32_e32 v7, vcc, v1, v9, vcc
	v_subrev_co_u32_e32 v8, vcc, s2, v2
	v_cmp_lt_i64_e64 s[4:5], v[2:3], v[0:1]
	s_nop 0
	v_subb_co_u32_e32 v9, vcc, v3, v9, vcc
	v_cmp_gt_i64_e64 s[2:3], 0, v[8:9]
	s_or_b64 s[2:3], s[2:3], s[4:5]
	v_cmp_lt_i64_e32 vcc, -1, v[6:7]
	s_xor_b64 s[2:3], s[2:3], -1
	s_and_b64 s[2:3], vcc, s[2:3]
	s_and_saveexec_b64 s[20:21], s[2:3]
	s_cbranch_execz .LBB14_58
; %bb.2:
	v_cmp_lt_i64_e32 vcc, v[0:1], v[2:3]
	v_mov_b32_e32 v21, 3
	s_and_saveexec_b64 s[22:23], vcc
	s_cbranch_execz .LBB14_57
; %bb.3:
	s_load_dword s4, s[0:1], 0x0
	s_load_dwordx4 s[16:19], s[0:1], 0x20
	s_load_dwordx2 s[2:3], s[0:1], 0x30
	s_load_dwordx8 s[8:15], s[0:1], 0x40
	s_mov_b64 s[26:27], 0
	s_waitcnt lgkmcnt(0)
	s_cmp_lg_u32 s4, 0
	s_mul_i32 s4, s18, s17
	s_mul_hi_u32 s5, s18, s16
	s_cselect_b64 s[24:25], -1, 0
	s_add_i32 s4, s5, s4
	s_mul_i32 s5, s19, s16
	s_add_i32 s5, s4, s5
	s_mul_i32 s4, s18, s16
	s_cmp_lg_u32 s13, 0
	s_cselect_b64 s[28:29], -1, 0
	s_cmp_lg_u32 s14, 0
	v_mul_lo_u32 v2, s5, v6
	v_mul_lo_u32 v3, s4, v7
	v_mad_u64_u32 v[0:1], s[34:35], s4, v6, 0
	s_cselect_b64 s[30:31], -1, 0
	s_cmp_lg_u32 s15, 0
	v_add3_u32 v1, v1, v3, v2
	s_cselect_b64 s[14:15], -1, 0
	v_lshl_add_u64 v[0:1], v[0:1], 2, s[2:3]
	s_lshl_b64 s[34:35], s[4:5], 2
	s_lshl_b64 s[36:37], s[16:17], 2
	;; [unrolled: 1-line block ×3, first 2 shown]
	v_cmp_gt_i64_e64 s[40:41], s[16:17], 0
	s_mov_b32 s13, 0x7f800000
	v_cmp_gt_i64_e64 s[42:43], s[18:19], 0
	v_mov_b64_e32 v[2:3], v[6:7]
                                        ; implicit-def: $sgpr44_sgpr45
                                        ; implicit-def: $sgpr46_sgpr47
                                        ; implicit-def: $sgpr48_sgpr49
	s_branch .LBB14_9
.LBB14_4:                               ;   in Loop: Header=BB14_9 Depth=1
	s_or_b64 exec, exec, s[60:61]
	s_orn2_b64 s[60:61], s[4:5], exec
	s_orn2_b64 s[2:3], s[2:3], exec
.LBB14_5:                               ;   in Loop: Header=BB14_9 Depth=1
	s_or_b64 exec, exec, s[58:59]
	s_orn2_b64 s[58:59], s[60:61], exec
	s_orn2_b64 s[4:5], s[2:3], exec
.LBB14_6:                               ;   in Loop: Header=BB14_9 Depth=1
	s_or_b64 exec, exec, s[56:57]
	s_orn2_b64 s[56:57], s[58:59], exec
	s_orn2_b64 s[2:3], s[4:5], exec
.LBB14_7:                               ;   in Loop: Header=BB14_9 Depth=1
	s_or_b64 exec, exec, s[52:53]
	s_andn2_b64 s[4:5], s[48:49], exec
	s_and_b64 s[48:49], s[56:57], exec
	s_or_b64 s[48:49], s[4:5], s[48:49]
	s_andn2_b64 s[4:5], s[46:47], exec
	s_and_b64 s[2:3], s[2:3], exec
	s_or_b64 s[46:47], s[4:5], s[2:3]
.LBB14_8:                               ;   in Loop: Header=BB14_9 Depth=1
	s_or_b64 exec, exec, s[50:51]
	s_and_b64 s[2:3], exec, s[46:47]
	s_or_b64 s[26:27], s[2:3], s[26:27]
	s_andn2_b64 s[2:3], s[44:45], exec
	s_and_b64 s[4:5], s[48:49], exec
	s_or_b64 s[44:45], s[2:3], s[4:5]
	s_andn2_b64 exec, exec, s[26:27]
	s_cbranch_execz .LBB14_56
.LBB14_9:                               ; =>This Loop Header: Depth=1
                                        ;     Child Loop BB14_33 Depth 2
                                        ;       Child Loop BB14_37 Depth 3
                                        ;     Child Loop BB14_17 Depth 2
                                        ;       Child Loop BB14_21 Depth 3
	v_lshl_add_u64 v[12:13], v[2:3], 3, s[8:9]
	global_load_dwordx2 v[10:11], v[12:13], off
	v_mov_b32_e32 v21, 4
	s_or_b64 s[48:49], s[48:49], exec
	s_or_b64 s[46:47], s[46:47], exec
	s_waitcnt vmcnt(0)
	v_subrev_co_u32_e32 v14, vcc, s12, v10
	s_nop 1
	v_subbrev_co_u32_e32 v15, vcc, 0, v11, vcc
	v_cmp_lt_i64_e32 vcc, -1, v[14:15]
	v_cmp_gt_i64_e64 s[2:3], s[6:7], v[14:15]
	s_and_b64 s[2:3], vcc, s[2:3]
	s_and_saveexec_b64 s[50:51], s[2:3]
	s_cbranch_execz .LBB14_8
; %bb.10:                               ;   in Loop: Header=BB14_9 Depth=1
	v_cmp_le_i64_e64 s[54:55], v[2:3], v[6:7]
	v_cmp_gt_i64_e32 vcc, v[2:3], v[6:7]
	v_mov_b32_e32 v21, 4
	s_mov_b64 s[4:5], s[54:55]
	s_and_saveexec_b64 s[52:53], vcc
	s_cbranch_execz .LBB14_12
; %bb.11:                               ;   in Loop: Header=BB14_9 Depth=1
	v_lshl_add_u64 v[16:17], v[2:3], 3, s[10:11]
	global_load_dwordx4 v[16:19], v[16:17], off offset:-8
	v_mov_b32_e32 v21, 5
	s_waitcnt vmcnt(0)
	v_subrev_co_u32_e32 v22, vcc, s12, v16
	s_nop 1
	v_subbrev_co_u32_e32 v23, vcc, 0, v17, vcc
	v_cmp_lt_i64_e64 s[2:3], -1, v[22:23]
	v_cmp_gt_i64_e64 s[4:5], s[6:7], v[22:23]
	s_and_b64 s[2:3], s[2:3], s[4:5]
	v_cmp_ne_u64_e32 vcc, v[18:19], v[16:17]
	s_xor_b64 s[2:3], s[2:3], -1
	s_or_b64 s[2:3], vcc, s[2:3]
	s_andn2_b64 s[4:5], s[54:55], exec
	s_and_b64 s[2:3], s[2:3], exec
	s_or_b64 s[4:5], s[4:5], s[2:3]
.LBB14_12:                              ;   in Loop: Header=BB14_9 Depth=1
	s_or_b64 exec, exec, s[52:53]
	s_mov_b64 s[2:3], -1
	s_mov_b64 s[56:57], -1
	s_and_saveexec_b64 s[52:53], s[4:5]
	s_cbranch_execz .LBB14_7
; %bb.13:                               ;   in Loop: Header=BB14_9 Depth=1
	s_and_b64 vcc, exec, s[24:25]
	s_cbranch_vccz .LBB14_29
; %bb.14:                               ;   in Loop: Header=BB14_9 Depth=1
	s_and_b64 vcc, exec, s[42:43]
	s_cbranch_vccz .LBB14_28
; %bb.15:                               ;   in Loop: Header=BB14_9 Depth=1
	s_mov_b64 s[4:5], 0
	v_mov_b64_e32 v[16:17], v[0:1]
	s_mov_b64 s[56:57], 0
                                        ; implicit-def: $sgpr2_sgpr3
	s_branch .LBB14_17
.LBB14_16:                              ;   in Loop: Header=BB14_17 Depth=2
	s_or_b64 exec, exec, s[62:63]
	s_xor_b64 s[60:61], s[64:65], -1
	s_and_b64 s[58:59], exec, s[58:59]
	s_or_b64 s[4:5], s[58:59], s[4:5]
	s_andn2_b64 s[2:3], s[2:3], exec
	s_and_b64 s[58:59], s[60:61], exec
	s_or_b64 s[2:3], s[2:3], s[58:59]
	s_andn2_b64 exec, exec, s[4:5]
	s_cbranch_execz .LBB14_27
.LBB14_17:                              ;   Parent Loop BB14_9 Depth=1
                                        ; =>  This Loop Header: Depth=2
                                        ;       Child Loop BB14_21 Depth 3
	s_mov_b64 s[58:59], -1
	s_andn2_b64 vcc, exec, s[40:41]
	s_mov_b64 s[60:61], -1
                                        ; implicit-def: $vgpr21
	s_cbranch_vccnz .LBB14_25
; %bb.18:                               ;   in Loop: Header=BB14_17 Depth=2
	s_mov_b64 s[62:63], 0
	v_mov_b64_e32 v[18:19], v[16:17]
	s_mov_b64 s[68:69], s[16:17]
                                        ; implicit-def: $sgpr60_sgpr61
                                        ; implicit-def: $sgpr64_sgpr65
                                        ; implicit-def: $sgpr66_sgpr67
	s_branch .LBB14_21
.LBB14_19:                              ;   in Loop: Header=BB14_21 Depth=3
	s_or_b64 exec, exec, s[76:77]
	s_andn2_b64 s[66:67], s[66:67], exec
	s_and_b64 s[74:75], s[74:75], exec
	s_andn2_b64 s[64:65], s[64:65], exec
	s_and_b64 s[72:73], s[72:73], exec
	v_mov_b32_e32 v21, 2
	s_or_b64 s[66:67], s[66:67], s[74:75]
	s_or_b64 s[64:65], s[64:65], s[72:73]
.LBB14_20:                              ;   in Loop: Header=BB14_21 Depth=3
	s_or_b64 exec, exec, s[70:71]
	s_xor_b64 s[70:71], s[66:67], -1
	s_and_b64 s[72:73], exec, s[64:65]
	s_or_b64 s[62:63], s[72:73], s[62:63]
	s_andn2_b64 s[60:61], s[60:61], exec
	s_and_b64 s[70:71], s[70:71], exec
	s_or_b64 s[60:61], s[60:61], s[70:71]
	s_andn2_b64 exec, exec, s[62:63]
	s_cbranch_execz .LBB14_24
.LBB14_21:                              ;   Parent Loop BB14_9 Depth=1
                                        ;     Parent Loop BB14_17 Depth=2
                                        ; =>    This Inner Loop Header: Depth=3
	global_load_dword v20, v[18:19], off
	v_mov_b32_e32 v21, 1
	s_or_b64 s[66:67], s[66:67], exec
	s_or_b64 s[64:65], s[64:65], exec
	s_waitcnt vmcnt(0)
	v_cmp_neq_f32_e32 vcc, s13, v20
	s_and_saveexec_b64 s[70:71], vcc
	s_xor_b64 s[70:71], exec, s[70:71]
	s_cbranch_execz .LBB14_20
; %bb.22:                               ;   in Loop: Header=BB14_21 Depth=3
	v_cmp_o_f32_e32 vcc, v20, v20
	s_mov_b64 s[72:73], -1
	s_mov_b64 s[74:75], -1
	s_and_saveexec_b64 s[76:77], vcc
	s_cbranch_execz .LBB14_19
; %bb.23:                               ;   in Loop: Header=BB14_21 Depth=3
	s_add_u32 s68, s68, -1
	s_addc_u32 s69, s69, -1
	s_cmp_eq_u64 s[68:69], 0
	s_cselect_b64 s[72:73], -1, 0
	v_lshl_add_u64 v[18:19], v[18:19], 0, 4
	s_xor_b64 s[74:75], exec, -1
	s_orn2_b64 s[72:73], s[72:73], exec
	s_branch .LBB14_19
.LBB14_24:                              ;   in Loop: Header=BB14_17 Depth=2
	s_or_b64 exec, exec, s[62:63]
.LBB14_25:                              ;   in Loop: Header=BB14_17 Depth=2
	s_mov_b64 s[64:65], -1
	s_and_saveexec_b64 s[62:63], s[60:61]
	s_cbranch_execz .LBB14_16
; %bb.26:                               ;   in Loop: Header=BB14_17 Depth=2
	s_add_u32 s56, s56, 1
	s_addc_u32 s57, s57, 0
	s_cmp_eq_u64 s[56:57], s[18:19]
	s_cselect_b64 s[58:59], -1, 0
	v_lshl_add_u64 v[16:17], v[16:17], 0, s[36:37]
	s_xor_b64 s[64:65], exec, -1
	s_orn2_b64 s[58:59], s[58:59], exec
	s_branch .LBB14_16
.LBB14_27:                              ;   in Loop: Header=BB14_9 Depth=1
	s_or_b64 exec, exec, s[4:5]
.LBB14_28:                              ;   in Loop: Header=BB14_9 Depth=1
	s_branch .LBB14_44
.LBB14_29:                              ;   in Loop: Header=BB14_9 Depth=1
	s_mov_b64 s[2:3], 0
	s_cbranch_execz .LBB14_44
; %bb.30:                               ;   in Loop: Header=BB14_9 Depth=1
	s_and_b64 vcc, exec, s[40:41]
	s_cbranch_vccz .LBB14_54
; %bb.31:                               ;   in Loop: Header=BB14_9 Depth=1
	s_mov_b64 s[4:5], 0
	v_mov_b64_e32 v[16:17], v[0:1]
	s_mov_b64 s[56:57], 0
                                        ; implicit-def: $sgpr2_sgpr3
	s_branch .LBB14_33
.LBB14_32:                              ;   in Loop: Header=BB14_33 Depth=2
	s_or_b64 exec, exec, s[62:63]
	s_xor_b64 s[60:61], s[64:65], -1
	s_and_b64 s[58:59], exec, s[58:59]
	s_or_b64 s[4:5], s[58:59], s[4:5]
	s_andn2_b64 s[2:3], s[2:3], exec
	s_and_b64 s[58:59], s[60:61], exec
	s_or_b64 s[2:3], s[2:3], s[58:59]
	s_andn2_b64 exec, exec, s[4:5]
	s_cbranch_execz .LBB14_43
.LBB14_33:                              ;   Parent Loop BB14_9 Depth=1
                                        ; =>  This Loop Header: Depth=2
                                        ;       Child Loop BB14_37 Depth 3
	s_mov_b64 s[58:59], -1
	s_andn2_b64 vcc, exec, s[42:43]
	s_mov_b64 s[60:61], -1
                                        ; implicit-def: $vgpr21
	s_cbranch_vccnz .LBB14_41
; %bb.34:                               ;   in Loop: Header=BB14_33 Depth=2
	s_mov_b64 s[62:63], 0
	v_mov_b64_e32 v[18:19], v[16:17]
	s_mov_b64 s[68:69], s[18:19]
                                        ; implicit-def: $sgpr60_sgpr61
                                        ; implicit-def: $sgpr64_sgpr65
                                        ; implicit-def: $sgpr66_sgpr67
	s_branch .LBB14_37
.LBB14_35:                              ;   in Loop: Header=BB14_37 Depth=3
	s_or_b64 exec, exec, s[76:77]
	s_andn2_b64 s[66:67], s[66:67], exec
	s_and_b64 s[74:75], s[74:75], exec
	s_andn2_b64 s[64:65], s[64:65], exec
	s_and_b64 s[72:73], s[72:73], exec
	v_mov_b32_e32 v21, 2
	s_or_b64 s[66:67], s[66:67], s[74:75]
	s_or_b64 s[64:65], s[64:65], s[72:73]
.LBB14_36:                              ;   in Loop: Header=BB14_37 Depth=3
	s_or_b64 exec, exec, s[70:71]
	s_xor_b64 s[70:71], s[66:67], -1
	s_and_b64 s[72:73], exec, s[64:65]
	s_or_b64 s[62:63], s[72:73], s[62:63]
	s_andn2_b64 s[60:61], s[60:61], exec
	s_and_b64 s[70:71], s[70:71], exec
	s_or_b64 s[60:61], s[60:61], s[70:71]
	s_andn2_b64 exec, exec, s[62:63]
	s_cbranch_execz .LBB14_40
.LBB14_37:                              ;   Parent Loop BB14_9 Depth=1
                                        ;     Parent Loop BB14_33 Depth=2
                                        ; =>    This Inner Loop Header: Depth=3
	global_load_dword v20, v[18:19], off
	v_mov_b32_e32 v21, 1
	s_or_b64 s[66:67], s[66:67], exec
	s_or_b64 s[64:65], s[64:65], exec
	s_waitcnt vmcnt(0)
	v_cmp_neq_f32_e32 vcc, s13, v20
	s_and_saveexec_b64 s[70:71], vcc
	s_xor_b64 s[70:71], exec, s[70:71]
	s_cbranch_execz .LBB14_36
; %bb.38:                               ;   in Loop: Header=BB14_37 Depth=3
	v_cmp_o_f32_e32 vcc, v20, v20
	s_mov_b64 s[72:73], -1
	s_mov_b64 s[74:75], -1
	s_and_saveexec_b64 s[76:77], vcc
	s_cbranch_execz .LBB14_35
; %bb.39:                               ;   in Loop: Header=BB14_37 Depth=3
	s_add_u32 s68, s68, -1
	s_addc_u32 s69, s69, -1
	s_cmp_eq_u64 s[68:69], 0
	s_cselect_b64 s[72:73], -1, 0
	v_lshl_add_u64 v[18:19], v[18:19], 0, 4
	s_xor_b64 s[74:75], exec, -1
	s_orn2_b64 s[72:73], s[72:73], exec
	s_branch .LBB14_35
.LBB14_40:                              ;   in Loop: Header=BB14_33 Depth=2
	s_or_b64 exec, exec, s[62:63]
.LBB14_41:                              ;   in Loop: Header=BB14_33 Depth=2
	s_mov_b64 s[64:65], -1
	s_and_saveexec_b64 s[62:63], s[60:61]
	s_cbranch_execz .LBB14_32
; %bb.42:                               ;   in Loop: Header=BB14_33 Depth=2
	s_add_u32 s56, s56, 1
	s_addc_u32 s57, s57, 0
	s_cmp_eq_u64 s[56:57], s[16:17]
	s_cselect_b64 s[58:59], -1, 0
	v_lshl_add_u64 v[16:17], v[16:17], 0, s[38:39]
	s_xor_b64 s[64:65], exec, -1
	s_orn2_b64 s[58:59], s[58:59], exec
	s_branch .LBB14_32
.LBB14_43:                              ;   in Loop: Header=BB14_9 Depth=1
	s_or_b64 exec, exec, s[4:5]
.LBB14_44:                              ;   in Loop: Header=BB14_9 Depth=1
	s_mov_b64 s[4:5], -1
	s_mov_b64 s[58:59], -1
	s_and_saveexec_b64 s[56:57], s[2:3]
	s_cbranch_execz .LBB14_6
.LBB14_45:                              ;   in Loop: Header=BB14_9 Depth=1
	s_mov_b64 s[2:3], -1
	s_and_b64 vcc, exec, s[28:29]
	s_cbranch_vccz .LBB14_49
; %bb.46:                               ;   in Loop: Header=BB14_9 Depth=1
	s_and_b64 vcc, exec, s[30:31]
	s_cbranch_vccz .LBB14_55
; %bb.47:                               ;   in Loop: Header=BB14_9 Depth=1
	v_cmp_ge_i64_e32 vcc, v[14:15], v[4:5]
	v_mov_b32_e32 v21, 7
	s_and_b64 s[4:5], vcc, exec
	s_cbranch_execnz .LBB14_49
.LBB14_48:                              ;   in Loop: Header=BB14_9 Depth=1
	v_cmp_le_i64_e32 vcc, v[14:15], v[4:5]
	s_andn2_b64 s[4:5], s[4:5], exec
	s_and_b64 s[58:59], vcc, exec
	v_mov_b32_e32 v21, 7
	s_or_b64 s[4:5], s[4:5], s[58:59]
.LBB14_49:                              ;   in Loop: Header=BB14_9 Depth=1
	s_mov_b64 s[60:61], -1
	s_and_saveexec_b64 s[58:59], s[4:5]
	s_cbranch_execz .LBB14_5
; %bb.50:                               ;   in Loop: Header=BB14_9 Depth=1
	s_or_b64 s[54:55], s[14:15], s[54:55]
	s_xor_b64 s[2:3], s[54:55], -1
	s_and_saveexec_b64 s[60:61], s[2:3]
	s_cbranch_execz .LBB14_52
; %bb.51:                               ;   in Loop: Header=BB14_9 Depth=1
	global_load_dwordx2 v[12:13], v[12:13], off offset:-8
	v_mov_b32_e32 v21, 6
	s_waitcnt vmcnt(0)
	v_subrev_co_u32_e32 v14, vcc, s12, v12
	s_nop 1
	v_subbrev_co_u32_e32 v15, vcc, 0, v13, vcc
	v_cmp_lt_i64_e64 s[2:3], -1, v[14:15]
	v_cmp_gt_i64_e64 s[4:5], s[6:7], v[14:15]
	s_and_b64 s[2:3], s[2:3], s[4:5]
	v_cmp_gt_i64_e32 vcc, v[10:11], v[12:13]
	s_xor_b64 s[2:3], s[2:3], -1
	s_or_b64 s[2:3], vcc, s[2:3]
	s_andn2_b64 s[4:5], s[54:55], exec
	s_and_b64 s[2:3], s[2:3], exec
	s_or_b64 s[54:55], s[4:5], s[2:3]
.LBB14_52:                              ;   in Loop: Header=BB14_9 Depth=1
	s_or_b64 exec, exec, s[60:61]
	s_mov_b64 s[2:3], -1
	s_mov_b64 s[4:5], -1
	s_and_saveexec_b64 s[60:61], s[54:55]
	s_cbranch_execz .LBB14_4
; %bb.53:                               ;   in Loop: Header=BB14_9 Depth=1
	v_lshl_add_u64 v[2:3], v[2:3], 0, 1
	v_cmp_ge_i64_e32 vcc, v[2:3], v[8:9]
	v_lshl_add_u64 v[0:1], v[0:1], 0, s[34:35]
	s_xor_b64 s[4:5], exec, -1
	s_orn2_b64 s[2:3], vcc, exec
	s_branch .LBB14_4
.LBB14_54:                              ;   in Loop: Header=BB14_9 Depth=1
	s_mov_b64 s[2:3], -1
	s_mov_b64 s[4:5], -1
	;; [unrolled: 1-line block ×3, first 2 shown]
	s_and_saveexec_b64 s[56:57], s[2:3]
	s_cbranch_execz .LBB14_6
	s_branch .LBB14_45
.LBB14_55:                              ;   in Loop: Header=BB14_9 Depth=1
	s_mov_b64 s[4:5], 0
	s_andn2_b64 vcc, exec, s[58:59]
	s_cbranch_vccz .LBB14_48
	s_branch .LBB14_49
.LBB14_56:
	s_or_b64 exec, exec, s[26:27]
	s_and_b64 s[8:9], s[44:45], exec
.LBB14_57:
	s_or_b64 exec, exec, s[22:23]
	s_orn2_b64 s[10:11], s[8:9], exec
.LBB14_58:
	s_or_b64 exec, exec, s[20:21]
	s_and_b64 exec, exec, s[10:11]
	s_cbranch_execz .LBB14_60
; %bb.59:
	s_load_dwordx2 s[0:1], s[0:1], 0x60
	v_mov_b32_e32 v0, 0
	s_waitcnt lgkmcnt(0)
	global_store_dword v0, v21, s[0:1]
.LBB14_60:
	s_endpgm
	.section	.rodata,"a",@progbits
	.p2align	6, 0x0
	.amdhsa_kernel _ZN9rocsparseL25check_matrix_gebsr_deviceILj256EfllEEv20rocsparse_direction_T2_S2_T1_S2_S2_PKT0_PKS3_PKS2_SA_21rocsparse_index_base_22rocsparse_matrix_type_20rocsparse_fill_mode_23rocsparse_storage_mode_P22rocsparse_data_status_
		.amdhsa_group_segment_fixed_size 0
		.amdhsa_private_segment_fixed_size 0
		.amdhsa_kernarg_size 104
		.amdhsa_user_sgpr_count 2
		.amdhsa_user_sgpr_dispatch_ptr 0
		.amdhsa_user_sgpr_queue_ptr 0
		.amdhsa_user_sgpr_kernarg_segment_ptr 1
		.amdhsa_user_sgpr_dispatch_id 0
		.amdhsa_user_sgpr_kernarg_preload_length 0
		.amdhsa_user_sgpr_kernarg_preload_offset 0
		.amdhsa_user_sgpr_private_segment_size 0
		.amdhsa_uses_dynamic_stack 0
		.amdhsa_enable_private_segment 0
		.amdhsa_system_sgpr_workgroup_id_x 1
		.amdhsa_system_sgpr_workgroup_id_y 0
		.amdhsa_system_sgpr_workgroup_id_z 0
		.amdhsa_system_sgpr_workgroup_info 0
		.amdhsa_system_vgpr_workitem_id 0
		.amdhsa_next_free_vgpr 24
		.amdhsa_next_free_sgpr 78
		.amdhsa_accum_offset 24
		.amdhsa_reserve_vcc 1
		.amdhsa_float_round_mode_32 0
		.amdhsa_float_round_mode_16_64 0
		.amdhsa_float_denorm_mode_32 3
		.amdhsa_float_denorm_mode_16_64 3
		.amdhsa_dx10_clamp 1
		.amdhsa_ieee_mode 1
		.amdhsa_fp16_overflow 0
		.amdhsa_tg_split 0
		.amdhsa_exception_fp_ieee_invalid_op 0
		.amdhsa_exception_fp_denorm_src 0
		.amdhsa_exception_fp_ieee_div_zero 0
		.amdhsa_exception_fp_ieee_overflow 0
		.amdhsa_exception_fp_ieee_underflow 0
		.amdhsa_exception_fp_ieee_inexact 0
		.amdhsa_exception_int_div_zero 0
	.end_amdhsa_kernel
	.section	.text._ZN9rocsparseL25check_matrix_gebsr_deviceILj256EfllEEv20rocsparse_direction_T2_S2_T1_S2_S2_PKT0_PKS3_PKS2_SA_21rocsparse_index_base_22rocsparse_matrix_type_20rocsparse_fill_mode_23rocsparse_storage_mode_P22rocsparse_data_status_,"axG",@progbits,_ZN9rocsparseL25check_matrix_gebsr_deviceILj256EfllEEv20rocsparse_direction_T2_S2_T1_S2_S2_PKT0_PKS3_PKS2_SA_21rocsparse_index_base_22rocsparse_matrix_type_20rocsparse_fill_mode_23rocsparse_storage_mode_P22rocsparse_data_status_,comdat
.Lfunc_end14:
	.size	_ZN9rocsparseL25check_matrix_gebsr_deviceILj256EfllEEv20rocsparse_direction_T2_S2_T1_S2_S2_PKT0_PKS3_PKS2_SA_21rocsparse_index_base_22rocsparse_matrix_type_20rocsparse_fill_mode_23rocsparse_storage_mode_P22rocsparse_data_status_, .Lfunc_end14-_ZN9rocsparseL25check_matrix_gebsr_deviceILj256EfllEEv20rocsparse_direction_T2_S2_T1_S2_S2_PKT0_PKS3_PKS2_SA_21rocsparse_index_base_22rocsparse_matrix_type_20rocsparse_fill_mode_23rocsparse_storage_mode_P22rocsparse_data_status_
                                        ; -- End function
	.set _ZN9rocsparseL25check_matrix_gebsr_deviceILj256EfllEEv20rocsparse_direction_T2_S2_T1_S2_S2_PKT0_PKS3_PKS2_SA_21rocsparse_index_base_22rocsparse_matrix_type_20rocsparse_fill_mode_23rocsparse_storage_mode_P22rocsparse_data_status_.num_vgpr, 24
	.set _ZN9rocsparseL25check_matrix_gebsr_deviceILj256EfllEEv20rocsparse_direction_T2_S2_T1_S2_S2_PKT0_PKS3_PKS2_SA_21rocsparse_index_base_22rocsparse_matrix_type_20rocsparse_fill_mode_23rocsparse_storage_mode_P22rocsparse_data_status_.num_agpr, 0
	.set _ZN9rocsparseL25check_matrix_gebsr_deviceILj256EfllEEv20rocsparse_direction_T2_S2_T1_S2_S2_PKT0_PKS3_PKS2_SA_21rocsparse_index_base_22rocsparse_matrix_type_20rocsparse_fill_mode_23rocsparse_storage_mode_P22rocsparse_data_status_.numbered_sgpr, 78
	.set _ZN9rocsparseL25check_matrix_gebsr_deviceILj256EfllEEv20rocsparse_direction_T2_S2_T1_S2_S2_PKT0_PKS3_PKS2_SA_21rocsparse_index_base_22rocsparse_matrix_type_20rocsparse_fill_mode_23rocsparse_storage_mode_P22rocsparse_data_status_.num_named_barrier, 0
	.set _ZN9rocsparseL25check_matrix_gebsr_deviceILj256EfllEEv20rocsparse_direction_T2_S2_T1_S2_S2_PKT0_PKS3_PKS2_SA_21rocsparse_index_base_22rocsparse_matrix_type_20rocsparse_fill_mode_23rocsparse_storage_mode_P22rocsparse_data_status_.private_seg_size, 0
	.set _ZN9rocsparseL25check_matrix_gebsr_deviceILj256EfllEEv20rocsparse_direction_T2_S2_T1_S2_S2_PKT0_PKS3_PKS2_SA_21rocsparse_index_base_22rocsparse_matrix_type_20rocsparse_fill_mode_23rocsparse_storage_mode_P22rocsparse_data_status_.uses_vcc, 1
	.set _ZN9rocsparseL25check_matrix_gebsr_deviceILj256EfllEEv20rocsparse_direction_T2_S2_T1_S2_S2_PKT0_PKS3_PKS2_SA_21rocsparse_index_base_22rocsparse_matrix_type_20rocsparse_fill_mode_23rocsparse_storage_mode_P22rocsparse_data_status_.uses_flat_scratch, 0
	.set _ZN9rocsparseL25check_matrix_gebsr_deviceILj256EfllEEv20rocsparse_direction_T2_S2_T1_S2_S2_PKT0_PKS3_PKS2_SA_21rocsparse_index_base_22rocsparse_matrix_type_20rocsparse_fill_mode_23rocsparse_storage_mode_P22rocsparse_data_status_.has_dyn_sized_stack, 0
	.set _ZN9rocsparseL25check_matrix_gebsr_deviceILj256EfllEEv20rocsparse_direction_T2_S2_T1_S2_S2_PKT0_PKS3_PKS2_SA_21rocsparse_index_base_22rocsparse_matrix_type_20rocsparse_fill_mode_23rocsparse_storage_mode_P22rocsparse_data_status_.has_recursion, 0
	.set _ZN9rocsparseL25check_matrix_gebsr_deviceILj256EfllEEv20rocsparse_direction_T2_S2_T1_S2_S2_PKT0_PKS3_PKS2_SA_21rocsparse_index_base_22rocsparse_matrix_type_20rocsparse_fill_mode_23rocsparse_storage_mode_P22rocsparse_data_status_.has_indirect_call, 0
	.section	.AMDGPU.csdata,"",@progbits
; Kernel info:
; codeLenInByte = 1612
; TotalNumSgprs: 84
; NumVgprs: 24
; NumAgprs: 0
; TotalNumVgprs: 24
; ScratchSize: 0
; MemoryBound: 0
; FloatMode: 240
; IeeeMode: 1
; LDSByteSize: 0 bytes/workgroup (compile time only)
; SGPRBlocks: 10
; VGPRBlocks: 2
; NumSGPRsForWavesPerEU: 84
; NumVGPRsForWavesPerEU: 24
; AccumOffset: 24
; Occupancy: 8
; WaveLimiterHint : 0
; COMPUTE_PGM_RSRC2:SCRATCH_EN: 0
; COMPUTE_PGM_RSRC2:USER_SGPR: 2
; COMPUTE_PGM_RSRC2:TRAP_HANDLER: 0
; COMPUTE_PGM_RSRC2:TGID_X_EN: 1
; COMPUTE_PGM_RSRC2:TGID_Y_EN: 0
; COMPUTE_PGM_RSRC2:TGID_Z_EN: 0
; COMPUTE_PGM_RSRC2:TIDIG_COMP_CNT: 0
; COMPUTE_PGM_RSRC3_GFX90A:ACCUM_OFFSET: 5
; COMPUTE_PGM_RSRC3_GFX90A:TG_SPLIT: 0
	.section	.text._ZN9rocsparseL25check_matrix_gebsr_deviceILj256EdllEEv20rocsparse_direction_T2_S2_T1_S2_S2_PKT0_PKS3_PKS2_SA_21rocsparse_index_base_22rocsparse_matrix_type_20rocsparse_fill_mode_23rocsparse_storage_mode_P22rocsparse_data_status_,"axG",@progbits,_ZN9rocsparseL25check_matrix_gebsr_deviceILj256EdllEEv20rocsparse_direction_T2_S2_T1_S2_S2_PKT0_PKS3_PKS2_SA_21rocsparse_index_base_22rocsparse_matrix_type_20rocsparse_fill_mode_23rocsparse_storage_mode_P22rocsparse_data_status_,comdat
	.globl	_ZN9rocsparseL25check_matrix_gebsr_deviceILj256EdllEEv20rocsparse_direction_T2_S2_T1_S2_S2_PKT0_PKS3_PKS2_SA_21rocsparse_index_base_22rocsparse_matrix_type_20rocsparse_fill_mode_23rocsparse_storage_mode_P22rocsparse_data_status_ ; -- Begin function _ZN9rocsparseL25check_matrix_gebsr_deviceILj256EdllEEv20rocsparse_direction_T2_S2_T1_S2_S2_PKT0_PKS3_PKS2_SA_21rocsparse_index_base_22rocsparse_matrix_type_20rocsparse_fill_mode_23rocsparse_storage_mode_P22rocsparse_data_status_
	.p2align	8
	.type	_ZN9rocsparseL25check_matrix_gebsr_deviceILj256EdllEEv20rocsparse_direction_T2_S2_T1_S2_S2_PKT0_PKS3_PKS2_SA_21rocsparse_index_base_22rocsparse_matrix_type_20rocsparse_fill_mode_23rocsparse_storage_mode_P22rocsparse_data_status_,@function
_ZN9rocsparseL25check_matrix_gebsr_deviceILj256EdllEEv20rocsparse_direction_T2_S2_T1_S2_S2_PKT0_PKS3_PKS2_SA_21rocsparse_index_base_22rocsparse_matrix_type_20rocsparse_fill_mode_23rocsparse_storage_mode_P22rocsparse_data_status_: ; @_ZN9rocsparseL25check_matrix_gebsr_deviceILj256EdllEEv20rocsparse_direction_T2_S2_T1_S2_S2_PKT0_PKS3_PKS2_SA_21rocsparse_index_base_22rocsparse_matrix_type_20rocsparse_fill_mode_23rocsparse_storage_mode_P22rocsparse_data_status_
; %bb.0:
	s_load_dwordx4 s[4:7], s[0:1], 0x8
	v_lshl_or_b32 v4, s2, 8, v0
	v_mov_b32_e32 v5, 0
	s_waitcnt lgkmcnt(0)
	v_cmp_gt_i64_e32 vcc, s[4:5], v[4:5]
	s_and_saveexec_b64 s[2:3], vcc
	s_cbranch_execz .LBB15_60
; %bb.1:
	s_load_dwordx2 s[2:3], s[0:1], 0x38
	v_mov_b32_e32 v22, 3
	s_mov_b64 s[10:11], -1
	s_mov_b64 s[8:9], 0
	s_waitcnt lgkmcnt(0)
	v_lshl_add_u64 v[0:1], v[4:5], 3, s[2:3]
	global_load_dwordx4 v[0:3], v[0:1], off
	s_load_dwordx2 s[2:3], s[2:3], 0x0
	s_waitcnt lgkmcnt(0)
	v_mov_b32_e32 v9, s3
	s_waitcnt vmcnt(0)
	v_subrev_co_u32_e32 v6, vcc, s2, v0
	s_nop 1
	v_subb_co_u32_e32 v7, vcc, v1, v9, vcc
	v_subrev_co_u32_e32 v8, vcc, s2, v2
	v_cmp_lt_i64_e64 s[4:5], v[2:3], v[0:1]
	s_nop 0
	v_subb_co_u32_e32 v9, vcc, v3, v9, vcc
	v_cmp_gt_i64_e64 s[2:3], 0, v[8:9]
	s_or_b64 s[2:3], s[2:3], s[4:5]
	v_cmp_lt_i64_e32 vcc, -1, v[6:7]
	s_xor_b64 s[2:3], s[2:3], -1
	s_and_b64 s[2:3], vcc, s[2:3]
	s_and_saveexec_b64 s[20:21], s[2:3]
	s_cbranch_execz .LBB15_58
; %bb.2:
	v_cmp_lt_i64_e32 vcc, v[0:1], v[2:3]
	v_mov_b32_e32 v22, 3
	s_and_saveexec_b64 s[22:23], vcc
	s_cbranch_execz .LBB15_57
; %bb.3:
	s_load_dword s4, s[0:1], 0x0
	s_load_dwordx4 s[16:19], s[0:1], 0x20
	s_load_dwordx2 s[2:3], s[0:1], 0x30
	s_load_dwordx8 s[8:15], s[0:1], 0x40
	s_mov_b32 s42, 0
	s_waitcnt lgkmcnt(0)
	s_cmp_lg_u32 s4, 0
	s_mul_i32 s4, s18, s17
	s_mul_hi_u32 s5, s18, s16
	s_cselect_b64 s[24:25], -1, 0
	s_add_i32 s4, s5, s4
	s_mul_i32 s5, s19, s16
	s_add_i32 s5, s4, s5
	s_mul_i32 s4, s18, s16
	s_cmp_lg_u32 s13, 0
	s_cselect_b64 s[28:29], -1, 0
	s_cmp_lg_u32 s14, 0
	v_mul_lo_u32 v2, s5, v6
	v_mul_lo_u32 v3, s4, v7
	v_mad_u64_u32 v[0:1], s[34:35], s4, v6, 0
	s_cselect_b64 s[30:31], -1, 0
	s_cmp_lg_u32 s15, 0
	v_add3_u32 v1, v1, v3, v2
	s_mov_b64 s[26:27], 0
	s_cselect_b64 s[14:15], -1, 0
	v_lshl_add_u64 v[0:1], v[0:1], 3, s[2:3]
	s_lshl_b64 s[34:35], s[4:5], 3
	s_lshl_b64 s[36:37], s[16:17], 3
	;; [unrolled: 1-line block ×3, first 2 shown]
	v_cmp_gt_i64_e64 s[40:41], s[16:17], 0
	s_mov_b32 s43, 0x7ff00000
	v_cmp_gt_i64_e64 s[44:45], s[18:19], 0
	v_mov_b64_e32 v[2:3], v[6:7]
                                        ; implicit-def: $sgpr46_sgpr47
                                        ; implicit-def: $sgpr48_sgpr49
                                        ; implicit-def: $sgpr50_sgpr51
	s_branch .LBB15_9
.LBB15_4:                               ;   in Loop: Header=BB15_9 Depth=1
	s_or_b64 exec, exec, s[62:63]
	s_orn2_b64 s[62:63], s[4:5], exec
	s_orn2_b64 s[2:3], s[2:3], exec
.LBB15_5:                               ;   in Loop: Header=BB15_9 Depth=1
	s_or_b64 exec, exec, s[60:61]
	s_orn2_b64 s[60:61], s[62:63], exec
	s_orn2_b64 s[4:5], s[2:3], exec
.LBB15_6:                               ;   in Loop: Header=BB15_9 Depth=1
	s_or_b64 exec, exec, s[58:59]
	s_orn2_b64 s[58:59], s[60:61], exec
	s_orn2_b64 s[2:3], s[4:5], exec
.LBB15_7:                               ;   in Loop: Header=BB15_9 Depth=1
	s_or_b64 exec, exec, s[54:55]
	s_andn2_b64 s[4:5], s[50:51], exec
	s_and_b64 s[50:51], s[58:59], exec
	s_or_b64 s[50:51], s[4:5], s[50:51]
	s_andn2_b64 s[4:5], s[48:49], exec
	s_and_b64 s[2:3], s[2:3], exec
	s_or_b64 s[48:49], s[4:5], s[2:3]
.LBB15_8:                               ;   in Loop: Header=BB15_9 Depth=1
	s_or_b64 exec, exec, s[52:53]
	s_and_b64 s[2:3], exec, s[48:49]
	s_or_b64 s[26:27], s[2:3], s[26:27]
	s_andn2_b64 s[2:3], s[46:47], exec
	s_and_b64 s[4:5], s[50:51], exec
	s_or_b64 s[46:47], s[2:3], s[4:5]
	s_andn2_b64 exec, exec, s[26:27]
	s_cbranch_execz .LBB15_56
.LBB15_9:                               ; =>This Loop Header: Depth=1
                                        ;     Child Loop BB15_33 Depth 2
                                        ;       Child Loop BB15_37 Depth 3
                                        ;     Child Loop BB15_17 Depth 2
                                        ;       Child Loop BB15_21 Depth 3
	v_lshl_add_u64 v[12:13], v[2:3], 3, s[8:9]
	global_load_dwordx2 v[10:11], v[12:13], off
	v_mov_b32_e32 v22, 4
	s_or_b64 s[50:51], s[50:51], exec
	s_or_b64 s[48:49], s[48:49], exec
	s_waitcnt vmcnt(0)
	v_subrev_co_u32_e32 v14, vcc, s12, v10
	s_nop 1
	v_subbrev_co_u32_e32 v15, vcc, 0, v11, vcc
	v_cmp_lt_i64_e32 vcc, -1, v[14:15]
	v_cmp_gt_i64_e64 s[2:3], s[6:7], v[14:15]
	s_and_b64 s[2:3], vcc, s[2:3]
	s_and_saveexec_b64 s[52:53], s[2:3]
	s_cbranch_execz .LBB15_8
; %bb.10:                               ;   in Loop: Header=BB15_9 Depth=1
	v_cmp_le_i64_e64 s[56:57], v[2:3], v[6:7]
	v_cmp_gt_i64_e32 vcc, v[2:3], v[6:7]
	v_mov_b32_e32 v22, 4
	s_mov_b64 s[4:5], s[56:57]
	s_and_saveexec_b64 s[54:55], vcc
	s_cbranch_execz .LBB15_12
; %bb.11:                               ;   in Loop: Header=BB15_9 Depth=1
	v_lshl_add_u64 v[16:17], v[2:3], 3, s[10:11]
	global_load_dwordx4 v[16:19], v[16:17], off offset:-8
	v_mov_b32_e32 v22, 5
	s_waitcnt vmcnt(0)
	v_subrev_co_u32_e32 v20, vcc, s12, v16
	s_nop 1
	v_subbrev_co_u32_e32 v21, vcc, 0, v17, vcc
	v_cmp_lt_i64_e64 s[2:3], -1, v[20:21]
	v_cmp_gt_i64_e64 s[4:5], s[6:7], v[20:21]
	s_and_b64 s[2:3], s[2:3], s[4:5]
	v_cmp_ne_u64_e32 vcc, v[18:19], v[16:17]
	s_xor_b64 s[2:3], s[2:3], -1
	s_or_b64 s[2:3], vcc, s[2:3]
	s_andn2_b64 s[4:5], s[56:57], exec
	s_and_b64 s[2:3], s[2:3], exec
	s_or_b64 s[4:5], s[4:5], s[2:3]
.LBB15_12:                              ;   in Loop: Header=BB15_9 Depth=1
	s_or_b64 exec, exec, s[54:55]
	s_mov_b64 s[2:3], -1
	s_mov_b64 s[58:59], -1
	s_and_saveexec_b64 s[54:55], s[4:5]
	s_cbranch_execz .LBB15_7
; %bb.13:                               ;   in Loop: Header=BB15_9 Depth=1
	s_and_b64 vcc, exec, s[24:25]
	s_cbranch_vccz .LBB15_29
; %bb.14:                               ;   in Loop: Header=BB15_9 Depth=1
	s_and_b64 vcc, exec, s[44:45]
	s_cbranch_vccz .LBB15_28
; %bb.15:                               ;   in Loop: Header=BB15_9 Depth=1
	s_mov_b64 s[4:5], 0
	v_mov_b64_e32 v[16:17], v[0:1]
	s_mov_b64 s[58:59], 0
                                        ; implicit-def: $sgpr2_sgpr3
	s_branch .LBB15_17
.LBB15_16:                              ;   in Loop: Header=BB15_17 Depth=2
	s_or_b64 exec, exec, s[64:65]
	s_xor_b64 s[62:63], s[66:67], -1
	s_and_b64 s[60:61], exec, s[60:61]
	s_or_b64 s[4:5], s[60:61], s[4:5]
	s_andn2_b64 s[2:3], s[2:3], exec
	s_and_b64 s[60:61], s[62:63], exec
	s_or_b64 s[2:3], s[2:3], s[60:61]
	s_andn2_b64 exec, exec, s[4:5]
	s_cbranch_execz .LBB15_27
.LBB15_17:                              ;   Parent Loop BB15_9 Depth=1
                                        ; =>  This Loop Header: Depth=2
                                        ;       Child Loop BB15_21 Depth 3
	s_mov_b64 s[60:61], -1
	s_andn2_b64 vcc, exec, s[40:41]
	s_mov_b64 s[62:63], -1
                                        ; implicit-def: $vgpr22
	s_cbranch_vccnz .LBB15_25
; %bb.18:                               ;   in Loop: Header=BB15_17 Depth=2
	s_mov_b64 s[64:65], 0
	v_mov_b64_e32 v[18:19], v[16:17]
	s_mov_b64 s[70:71], s[16:17]
                                        ; implicit-def: $sgpr62_sgpr63
                                        ; implicit-def: $sgpr66_sgpr67
                                        ; implicit-def: $sgpr68_sgpr69
	s_branch .LBB15_21
.LBB15_19:                              ;   in Loop: Header=BB15_21 Depth=3
	s_or_b64 exec, exec, s[78:79]
	s_andn2_b64 s[68:69], s[68:69], exec
	s_and_b64 s[76:77], s[76:77], exec
	s_andn2_b64 s[66:67], s[66:67], exec
	s_and_b64 s[74:75], s[74:75], exec
	v_mov_b32_e32 v22, 2
	s_or_b64 s[68:69], s[68:69], s[76:77]
	s_or_b64 s[66:67], s[66:67], s[74:75]
.LBB15_20:                              ;   in Loop: Header=BB15_21 Depth=3
	s_or_b64 exec, exec, s[72:73]
	s_xor_b64 s[72:73], s[68:69], -1
	s_and_b64 s[74:75], exec, s[66:67]
	s_or_b64 s[64:65], s[74:75], s[64:65]
	s_andn2_b64 s[62:63], s[62:63], exec
	s_and_b64 s[72:73], s[72:73], exec
	s_or_b64 s[62:63], s[62:63], s[72:73]
	s_andn2_b64 exec, exec, s[64:65]
	s_cbranch_execz .LBB15_24
.LBB15_21:                              ;   Parent Loop BB15_9 Depth=1
                                        ;     Parent Loop BB15_17 Depth=2
                                        ; =>    This Inner Loop Header: Depth=3
	global_load_dwordx2 v[20:21], v[18:19], off
	v_mov_b32_e32 v22, 1
	s_or_b64 s[68:69], s[68:69], exec
	s_or_b64 s[66:67], s[66:67], exec
	s_waitcnt vmcnt(0)
	v_cmp_neq_f64_e32 vcc, s[42:43], v[20:21]
	s_and_saveexec_b64 s[72:73], vcc
	s_xor_b64 s[72:73], exec, s[72:73]
	s_cbranch_execz .LBB15_20
; %bb.22:                               ;   in Loop: Header=BB15_21 Depth=3
	v_cmp_o_f64_e32 vcc, v[20:21], v[20:21]
	s_mov_b64 s[74:75], -1
	s_mov_b64 s[76:77], -1
	s_and_saveexec_b64 s[78:79], vcc
	s_cbranch_execz .LBB15_19
; %bb.23:                               ;   in Loop: Header=BB15_21 Depth=3
	s_add_u32 s70, s70, -1
	s_addc_u32 s71, s71, -1
	s_cmp_eq_u64 s[70:71], 0
	s_cselect_b64 s[74:75], -1, 0
	v_lshl_add_u64 v[18:19], v[18:19], 0, 8
	s_xor_b64 s[76:77], exec, -1
	s_orn2_b64 s[74:75], s[74:75], exec
	s_branch .LBB15_19
.LBB15_24:                              ;   in Loop: Header=BB15_17 Depth=2
	s_or_b64 exec, exec, s[64:65]
.LBB15_25:                              ;   in Loop: Header=BB15_17 Depth=2
	s_mov_b64 s[66:67], -1
	s_and_saveexec_b64 s[64:65], s[62:63]
	s_cbranch_execz .LBB15_16
; %bb.26:                               ;   in Loop: Header=BB15_17 Depth=2
	s_add_u32 s58, s58, 1
	s_addc_u32 s59, s59, 0
	s_cmp_eq_u64 s[58:59], s[18:19]
	s_cselect_b64 s[60:61], -1, 0
	v_lshl_add_u64 v[16:17], v[16:17], 0, s[36:37]
	s_xor_b64 s[66:67], exec, -1
	s_orn2_b64 s[60:61], s[60:61], exec
	s_branch .LBB15_16
.LBB15_27:                              ;   in Loop: Header=BB15_9 Depth=1
	s_or_b64 exec, exec, s[4:5]
.LBB15_28:                              ;   in Loop: Header=BB15_9 Depth=1
	s_branch .LBB15_44
.LBB15_29:                              ;   in Loop: Header=BB15_9 Depth=1
	s_mov_b64 s[2:3], 0
	s_cbranch_execz .LBB15_44
; %bb.30:                               ;   in Loop: Header=BB15_9 Depth=1
	s_and_b64 vcc, exec, s[40:41]
	s_cbranch_vccz .LBB15_54
; %bb.31:                               ;   in Loop: Header=BB15_9 Depth=1
	s_mov_b64 s[4:5], 0
	v_mov_b64_e32 v[16:17], v[0:1]
	s_mov_b64 s[58:59], 0
                                        ; implicit-def: $sgpr2_sgpr3
	s_branch .LBB15_33
.LBB15_32:                              ;   in Loop: Header=BB15_33 Depth=2
	s_or_b64 exec, exec, s[64:65]
	s_xor_b64 s[62:63], s[66:67], -1
	s_and_b64 s[60:61], exec, s[60:61]
	s_or_b64 s[4:5], s[60:61], s[4:5]
	s_andn2_b64 s[2:3], s[2:3], exec
	s_and_b64 s[60:61], s[62:63], exec
	s_or_b64 s[2:3], s[2:3], s[60:61]
	s_andn2_b64 exec, exec, s[4:5]
	s_cbranch_execz .LBB15_43
.LBB15_33:                              ;   Parent Loop BB15_9 Depth=1
                                        ; =>  This Loop Header: Depth=2
                                        ;       Child Loop BB15_37 Depth 3
	s_mov_b64 s[60:61], -1
	s_andn2_b64 vcc, exec, s[44:45]
	s_mov_b64 s[62:63], -1
                                        ; implicit-def: $vgpr22
	s_cbranch_vccnz .LBB15_41
; %bb.34:                               ;   in Loop: Header=BB15_33 Depth=2
	s_mov_b64 s[64:65], 0
	v_mov_b64_e32 v[18:19], v[16:17]
	s_mov_b64 s[70:71], s[18:19]
                                        ; implicit-def: $sgpr62_sgpr63
                                        ; implicit-def: $sgpr66_sgpr67
                                        ; implicit-def: $sgpr68_sgpr69
	s_branch .LBB15_37
.LBB15_35:                              ;   in Loop: Header=BB15_37 Depth=3
	s_or_b64 exec, exec, s[78:79]
	s_andn2_b64 s[68:69], s[68:69], exec
	s_and_b64 s[76:77], s[76:77], exec
	s_andn2_b64 s[66:67], s[66:67], exec
	s_and_b64 s[74:75], s[74:75], exec
	v_mov_b32_e32 v22, 2
	s_or_b64 s[68:69], s[68:69], s[76:77]
	s_or_b64 s[66:67], s[66:67], s[74:75]
.LBB15_36:                              ;   in Loop: Header=BB15_37 Depth=3
	s_or_b64 exec, exec, s[72:73]
	s_xor_b64 s[72:73], s[68:69], -1
	s_and_b64 s[74:75], exec, s[66:67]
	s_or_b64 s[64:65], s[74:75], s[64:65]
	s_andn2_b64 s[62:63], s[62:63], exec
	s_and_b64 s[72:73], s[72:73], exec
	s_or_b64 s[62:63], s[62:63], s[72:73]
	s_andn2_b64 exec, exec, s[64:65]
	s_cbranch_execz .LBB15_40
.LBB15_37:                              ;   Parent Loop BB15_9 Depth=1
                                        ;     Parent Loop BB15_33 Depth=2
                                        ; =>    This Inner Loop Header: Depth=3
	global_load_dwordx2 v[20:21], v[18:19], off
	v_mov_b32_e32 v22, 1
	s_or_b64 s[68:69], s[68:69], exec
	s_or_b64 s[66:67], s[66:67], exec
	s_waitcnt vmcnt(0)
	v_cmp_neq_f64_e32 vcc, s[42:43], v[20:21]
	s_and_saveexec_b64 s[72:73], vcc
	s_xor_b64 s[72:73], exec, s[72:73]
	s_cbranch_execz .LBB15_36
; %bb.38:                               ;   in Loop: Header=BB15_37 Depth=3
	v_cmp_o_f64_e32 vcc, v[20:21], v[20:21]
	s_mov_b64 s[74:75], -1
	s_mov_b64 s[76:77], -1
	s_and_saveexec_b64 s[78:79], vcc
	s_cbranch_execz .LBB15_35
; %bb.39:                               ;   in Loop: Header=BB15_37 Depth=3
	s_add_u32 s70, s70, -1
	s_addc_u32 s71, s71, -1
	s_cmp_eq_u64 s[70:71], 0
	s_cselect_b64 s[74:75], -1, 0
	v_lshl_add_u64 v[18:19], v[18:19], 0, 8
	s_xor_b64 s[76:77], exec, -1
	s_orn2_b64 s[74:75], s[74:75], exec
	s_branch .LBB15_35
.LBB15_40:                              ;   in Loop: Header=BB15_33 Depth=2
	s_or_b64 exec, exec, s[64:65]
.LBB15_41:                              ;   in Loop: Header=BB15_33 Depth=2
	s_mov_b64 s[66:67], -1
	s_and_saveexec_b64 s[64:65], s[62:63]
	s_cbranch_execz .LBB15_32
; %bb.42:                               ;   in Loop: Header=BB15_33 Depth=2
	s_add_u32 s58, s58, 1
	s_addc_u32 s59, s59, 0
	s_cmp_eq_u64 s[58:59], s[16:17]
	s_cselect_b64 s[60:61], -1, 0
	v_lshl_add_u64 v[16:17], v[16:17], 0, s[38:39]
	s_xor_b64 s[66:67], exec, -1
	s_orn2_b64 s[60:61], s[60:61], exec
	s_branch .LBB15_32
.LBB15_43:                              ;   in Loop: Header=BB15_9 Depth=1
	s_or_b64 exec, exec, s[4:5]
.LBB15_44:                              ;   in Loop: Header=BB15_9 Depth=1
	s_mov_b64 s[4:5], -1
	s_mov_b64 s[60:61], -1
	s_and_saveexec_b64 s[58:59], s[2:3]
	s_cbranch_execz .LBB15_6
.LBB15_45:                              ;   in Loop: Header=BB15_9 Depth=1
	s_mov_b64 s[2:3], -1
	s_and_b64 vcc, exec, s[28:29]
	s_cbranch_vccz .LBB15_49
; %bb.46:                               ;   in Loop: Header=BB15_9 Depth=1
	s_and_b64 vcc, exec, s[30:31]
	s_cbranch_vccz .LBB15_55
; %bb.47:                               ;   in Loop: Header=BB15_9 Depth=1
	v_cmp_ge_i64_e32 vcc, v[14:15], v[4:5]
	v_mov_b32_e32 v22, 7
	s_and_b64 s[4:5], vcc, exec
	s_cbranch_execnz .LBB15_49
.LBB15_48:                              ;   in Loop: Header=BB15_9 Depth=1
	v_cmp_le_i64_e32 vcc, v[14:15], v[4:5]
	s_andn2_b64 s[4:5], s[4:5], exec
	s_and_b64 s[60:61], vcc, exec
	v_mov_b32_e32 v22, 7
	s_or_b64 s[4:5], s[4:5], s[60:61]
.LBB15_49:                              ;   in Loop: Header=BB15_9 Depth=1
	s_mov_b64 s[62:63], -1
	s_and_saveexec_b64 s[60:61], s[4:5]
	s_cbranch_execz .LBB15_5
; %bb.50:                               ;   in Loop: Header=BB15_9 Depth=1
	s_or_b64 s[56:57], s[14:15], s[56:57]
	s_xor_b64 s[2:3], s[56:57], -1
	s_and_saveexec_b64 s[62:63], s[2:3]
	s_cbranch_execz .LBB15_52
; %bb.51:                               ;   in Loop: Header=BB15_9 Depth=1
	global_load_dwordx2 v[12:13], v[12:13], off offset:-8
	v_mov_b32_e32 v22, 6
	s_waitcnt vmcnt(0)
	v_subrev_co_u32_e32 v14, vcc, s12, v12
	s_nop 1
	v_subbrev_co_u32_e32 v15, vcc, 0, v13, vcc
	v_cmp_lt_i64_e64 s[2:3], -1, v[14:15]
	v_cmp_gt_i64_e64 s[4:5], s[6:7], v[14:15]
	s_and_b64 s[2:3], s[2:3], s[4:5]
	v_cmp_gt_i64_e32 vcc, v[10:11], v[12:13]
	s_xor_b64 s[2:3], s[2:3], -1
	s_or_b64 s[2:3], vcc, s[2:3]
	s_andn2_b64 s[4:5], s[56:57], exec
	s_and_b64 s[2:3], s[2:3], exec
	s_or_b64 s[56:57], s[4:5], s[2:3]
.LBB15_52:                              ;   in Loop: Header=BB15_9 Depth=1
	s_or_b64 exec, exec, s[62:63]
	s_mov_b64 s[2:3], -1
	s_mov_b64 s[4:5], -1
	s_and_saveexec_b64 s[62:63], s[56:57]
	s_cbranch_execz .LBB15_4
; %bb.53:                               ;   in Loop: Header=BB15_9 Depth=1
	v_lshl_add_u64 v[2:3], v[2:3], 0, 1
	v_cmp_ge_i64_e32 vcc, v[2:3], v[8:9]
	v_lshl_add_u64 v[0:1], v[0:1], 0, s[34:35]
	s_xor_b64 s[4:5], exec, -1
	s_orn2_b64 s[2:3], vcc, exec
	s_branch .LBB15_4
.LBB15_54:                              ;   in Loop: Header=BB15_9 Depth=1
	s_mov_b64 s[2:3], -1
	s_mov_b64 s[4:5], -1
	;; [unrolled: 1-line block ×3, first 2 shown]
	s_and_saveexec_b64 s[58:59], s[2:3]
	s_cbranch_execz .LBB15_6
	s_branch .LBB15_45
.LBB15_55:                              ;   in Loop: Header=BB15_9 Depth=1
	s_mov_b64 s[4:5], 0
	s_andn2_b64 vcc, exec, s[60:61]
	s_cbranch_vccz .LBB15_48
	s_branch .LBB15_49
.LBB15_56:
	s_or_b64 exec, exec, s[26:27]
	s_and_b64 s[8:9], s[46:47], exec
.LBB15_57:
	s_or_b64 exec, exec, s[22:23]
	s_orn2_b64 s[10:11], s[8:9], exec
.LBB15_58:
	s_or_b64 exec, exec, s[20:21]
	s_and_b64 exec, exec, s[10:11]
	s_cbranch_execz .LBB15_60
; %bb.59:
	s_load_dwordx2 s[0:1], s[0:1], 0x60
	v_mov_b32_e32 v0, 0
	s_waitcnt lgkmcnt(0)
	global_store_dword v0, v22, s[0:1]
.LBB15_60:
	s_endpgm
	.section	.rodata,"a",@progbits
	.p2align	6, 0x0
	.amdhsa_kernel _ZN9rocsparseL25check_matrix_gebsr_deviceILj256EdllEEv20rocsparse_direction_T2_S2_T1_S2_S2_PKT0_PKS3_PKS2_SA_21rocsparse_index_base_22rocsparse_matrix_type_20rocsparse_fill_mode_23rocsparse_storage_mode_P22rocsparse_data_status_
		.amdhsa_group_segment_fixed_size 0
		.amdhsa_private_segment_fixed_size 0
		.amdhsa_kernarg_size 104
		.amdhsa_user_sgpr_count 2
		.amdhsa_user_sgpr_dispatch_ptr 0
		.amdhsa_user_sgpr_queue_ptr 0
		.amdhsa_user_sgpr_kernarg_segment_ptr 1
		.amdhsa_user_sgpr_dispatch_id 0
		.amdhsa_user_sgpr_kernarg_preload_length 0
		.amdhsa_user_sgpr_kernarg_preload_offset 0
		.amdhsa_user_sgpr_private_segment_size 0
		.amdhsa_uses_dynamic_stack 0
		.amdhsa_enable_private_segment 0
		.amdhsa_system_sgpr_workgroup_id_x 1
		.amdhsa_system_sgpr_workgroup_id_y 0
		.amdhsa_system_sgpr_workgroup_id_z 0
		.amdhsa_system_sgpr_workgroup_info 0
		.amdhsa_system_vgpr_workitem_id 0
		.amdhsa_next_free_vgpr 23
		.amdhsa_next_free_sgpr 80
		.amdhsa_accum_offset 24
		.amdhsa_reserve_vcc 1
		.amdhsa_float_round_mode_32 0
		.amdhsa_float_round_mode_16_64 0
		.amdhsa_float_denorm_mode_32 3
		.amdhsa_float_denorm_mode_16_64 3
		.amdhsa_dx10_clamp 1
		.amdhsa_ieee_mode 1
		.amdhsa_fp16_overflow 0
		.amdhsa_tg_split 0
		.amdhsa_exception_fp_ieee_invalid_op 0
		.amdhsa_exception_fp_denorm_src 0
		.amdhsa_exception_fp_ieee_div_zero 0
		.amdhsa_exception_fp_ieee_overflow 0
		.amdhsa_exception_fp_ieee_underflow 0
		.amdhsa_exception_fp_ieee_inexact 0
		.amdhsa_exception_int_div_zero 0
	.end_amdhsa_kernel
	.section	.text._ZN9rocsparseL25check_matrix_gebsr_deviceILj256EdllEEv20rocsparse_direction_T2_S2_T1_S2_S2_PKT0_PKS3_PKS2_SA_21rocsparse_index_base_22rocsparse_matrix_type_20rocsparse_fill_mode_23rocsparse_storage_mode_P22rocsparse_data_status_,"axG",@progbits,_ZN9rocsparseL25check_matrix_gebsr_deviceILj256EdllEEv20rocsparse_direction_T2_S2_T1_S2_S2_PKT0_PKS3_PKS2_SA_21rocsparse_index_base_22rocsparse_matrix_type_20rocsparse_fill_mode_23rocsparse_storage_mode_P22rocsparse_data_status_,comdat
.Lfunc_end15:
	.size	_ZN9rocsparseL25check_matrix_gebsr_deviceILj256EdllEEv20rocsparse_direction_T2_S2_T1_S2_S2_PKT0_PKS3_PKS2_SA_21rocsparse_index_base_22rocsparse_matrix_type_20rocsparse_fill_mode_23rocsparse_storage_mode_P22rocsparse_data_status_, .Lfunc_end15-_ZN9rocsparseL25check_matrix_gebsr_deviceILj256EdllEEv20rocsparse_direction_T2_S2_T1_S2_S2_PKT0_PKS3_PKS2_SA_21rocsparse_index_base_22rocsparse_matrix_type_20rocsparse_fill_mode_23rocsparse_storage_mode_P22rocsparse_data_status_
                                        ; -- End function
	.set _ZN9rocsparseL25check_matrix_gebsr_deviceILj256EdllEEv20rocsparse_direction_T2_S2_T1_S2_S2_PKT0_PKS3_PKS2_SA_21rocsparse_index_base_22rocsparse_matrix_type_20rocsparse_fill_mode_23rocsparse_storage_mode_P22rocsparse_data_status_.num_vgpr, 23
	.set _ZN9rocsparseL25check_matrix_gebsr_deviceILj256EdllEEv20rocsparse_direction_T2_S2_T1_S2_S2_PKT0_PKS3_PKS2_SA_21rocsparse_index_base_22rocsparse_matrix_type_20rocsparse_fill_mode_23rocsparse_storage_mode_P22rocsparse_data_status_.num_agpr, 0
	.set _ZN9rocsparseL25check_matrix_gebsr_deviceILj256EdllEEv20rocsparse_direction_T2_S2_T1_S2_S2_PKT0_PKS3_PKS2_SA_21rocsparse_index_base_22rocsparse_matrix_type_20rocsparse_fill_mode_23rocsparse_storage_mode_P22rocsparse_data_status_.numbered_sgpr, 80
	.set _ZN9rocsparseL25check_matrix_gebsr_deviceILj256EdllEEv20rocsparse_direction_T2_S2_T1_S2_S2_PKT0_PKS3_PKS2_SA_21rocsparse_index_base_22rocsparse_matrix_type_20rocsparse_fill_mode_23rocsparse_storage_mode_P22rocsparse_data_status_.num_named_barrier, 0
	.set _ZN9rocsparseL25check_matrix_gebsr_deviceILj256EdllEEv20rocsparse_direction_T2_S2_T1_S2_S2_PKT0_PKS3_PKS2_SA_21rocsparse_index_base_22rocsparse_matrix_type_20rocsparse_fill_mode_23rocsparse_storage_mode_P22rocsparse_data_status_.private_seg_size, 0
	.set _ZN9rocsparseL25check_matrix_gebsr_deviceILj256EdllEEv20rocsparse_direction_T2_S2_T1_S2_S2_PKT0_PKS3_PKS2_SA_21rocsparse_index_base_22rocsparse_matrix_type_20rocsparse_fill_mode_23rocsparse_storage_mode_P22rocsparse_data_status_.uses_vcc, 1
	.set _ZN9rocsparseL25check_matrix_gebsr_deviceILj256EdllEEv20rocsparse_direction_T2_S2_T1_S2_S2_PKT0_PKS3_PKS2_SA_21rocsparse_index_base_22rocsparse_matrix_type_20rocsparse_fill_mode_23rocsparse_storage_mode_P22rocsparse_data_status_.uses_flat_scratch, 0
	.set _ZN9rocsparseL25check_matrix_gebsr_deviceILj256EdllEEv20rocsparse_direction_T2_S2_T1_S2_S2_PKT0_PKS3_PKS2_SA_21rocsparse_index_base_22rocsparse_matrix_type_20rocsparse_fill_mode_23rocsparse_storage_mode_P22rocsparse_data_status_.has_dyn_sized_stack, 0
	.set _ZN9rocsparseL25check_matrix_gebsr_deviceILj256EdllEEv20rocsparse_direction_T2_S2_T1_S2_S2_PKT0_PKS3_PKS2_SA_21rocsparse_index_base_22rocsparse_matrix_type_20rocsparse_fill_mode_23rocsparse_storage_mode_P22rocsparse_data_status_.has_recursion, 0
	.set _ZN9rocsparseL25check_matrix_gebsr_deviceILj256EdllEEv20rocsparse_direction_T2_S2_T1_S2_S2_PKT0_PKS3_PKS2_SA_21rocsparse_index_base_22rocsparse_matrix_type_20rocsparse_fill_mode_23rocsparse_storage_mode_P22rocsparse_data_status_.has_indirect_call, 0
	.section	.AMDGPU.csdata,"",@progbits
; Kernel info:
; codeLenInByte = 1616
; TotalNumSgprs: 86
; NumVgprs: 23
; NumAgprs: 0
; TotalNumVgprs: 23
; ScratchSize: 0
; MemoryBound: 0
; FloatMode: 240
; IeeeMode: 1
; LDSByteSize: 0 bytes/workgroup (compile time only)
; SGPRBlocks: 10
; VGPRBlocks: 2
; NumSGPRsForWavesPerEU: 86
; NumVGPRsForWavesPerEU: 23
; AccumOffset: 24
; Occupancy: 8
; WaveLimiterHint : 0
; COMPUTE_PGM_RSRC2:SCRATCH_EN: 0
; COMPUTE_PGM_RSRC2:USER_SGPR: 2
; COMPUTE_PGM_RSRC2:TRAP_HANDLER: 0
; COMPUTE_PGM_RSRC2:TGID_X_EN: 1
; COMPUTE_PGM_RSRC2:TGID_Y_EN: 0
; COMPUTE_PGM_RSRC2:TGID_Z_EN: 0
; COMPUTE_PGM_RSRC2:TIDIG_COMP_CNT: 0
; COMPUTE_PGM_RSRC3_GFX90A:ACCUM_OFFSET: 5
; COMPUTE_PGM_RSRC3_GFX90A:TG_SPLIT: 0
	.section	.text._ZN9rocsparseL25check_matrix_gebsr_deviceILj256E21rocsparse_complex_numIfEllEEv20rocsparse_direction_T2_S4_T1_S4_S4_PKT0_PKS5_PKS4_SC_21rocsparse_index_base_22rocsparse_matrix_type_20rocsparse_fill_mode_23rocsparse_storage_mode_P22rocsparse_data_status_,"axG",@progbits,_ZN9rocsparseL25check_matrix_gebsr_deviceILj256E21rocsparse_complex_numIfEllEEv20rocsparse_direction_T2_S4_T1_S4_S4_PKT0_PKS5_PKS4_SC_21rocsparse_index_base_22rocsparse_matrix_type_20rocsparse_fill_mode_23rocsparse_storage_mode_P22rocsparse_data_status_,comdat
	.globl	_ZN9rocsparseL25check_matrix_gebsr_deviceILj256E21rocsparse_complex_numIfEllEEv20rocsparse_direction_T2_S4_T1_S4_S4_PKT0_PKS5_PKS4_SC_21rocsparse_index_base_22rocsparse_matrix_type_20rocsparse_fill_mode_23rocsparse_storage_mode_P22rocsparse_data_status_ ; -- Begin function _ZN9rocsparseL25check_matrix_gebsr_deviceILj256E21rocsparse_complex_numIfEllEEv20rocsparse_direction_T2_S4_T1_S4_S4_PKT0_PKS5_PKS4_SC_21rocsparse_index_base_22rocsparse_matrix_type_20rocsparse_fill_mode_23rocsparse_storage_mode_P22rocsparse_data_status_
	.p2align	8
	.type	_ZN9rocsparseL25check_matrix_gebsr_deviceILj256E21rocsparse_complex_numIfEllEEv20rocsparse_direction_T2_S4_T1_S4_S4_PKT0_PKS5_PKS4_SC_21rocsparse_index_base_22rocsparse_matrix_type_20rocsparse_fill_mode_23rocsparse_storage_mode_P22rocsparse_data_status_,@function
_ZN9rocsparseL25check_matrix_gebsr_deviceILj256E21rocsparse_complex_numIfEllEEv20rocsparse_direction_T2_S4_T1_S4_S4_PKT0_PKS5_PKS4_SC_21rocsparse_index_base_22rocsparse_matrix_type_20rocsparse_fill_mode_23rocsparse_storage_mode_P22rocsparse_data_status_: ; @_ZN9rocsparseL25check_matrix_gebsr_deviceILj256E21rocsparse_complex_numIfEllEEv20rocsparse_direction_T2_S4_T1_S4_S4_PKT0_PKS5_PKS4_SC_21rocsparse_index_base_22rocsparse_matrix_type_20rocsparse_fill_mode_23rocsparse_storage_mode_P22rocsparse_data_status_
; %bb.0:
	s_load_dwordx4 s[4:7], s[0:1], 0x8
	v_lshl_or_b32 v4, s2, 8, v0
	v_mov_b32_e32 v5, 0
	s_waitcnt lgkmcnt(0)
	v_cmp_gt_i64_e32 vcc, s[4:5], v[4:5]
	s_and_saveexec_b64 s[2:3], vcc
	s_cbranch_execz .LBB16_61
; %bb.1:
	s_load_dwordx2 s[2:3], s[0:1], 0x38
	v_mov_b32_e32 v22, 3
	s_mov_b64 s[10:11], -1
	s_mov_b64 s[8:9], 0
	s_waitcnt lgkmcnt(0)
	v_lshl_add_u64 v[0:1], v[4:5], 3, s[2:3]
	global_load_dwordx4 v[0:3], v[0:1], off
	s_load_dwordx2 s[2:3], s[2:3], 0x0
	s_waitcnt lgkmcnt(0)
	v_mov_b32_e32 v9, s3
	s_waitcnt vmcnt(0)
	v_subrev_co_u32_e32 v6, vcc, s2, v0
	s_nop 1
	v_subb_co_u32_e32 v7, vcc, v1, v9, vcc
	v_subrev_co_u32_e32 v8, vcc, s2, v2
	v_cmp_lt_i64_e64 s[4:5], v[2:3], v[0:1]
	s_nop 0
	v_subb_co_u32_e32 v9, vcc, v3, v9, vcc
	v_cmp_gt_i64_e64 s[2:3], 0, v[8:9]
	s_or_b64 s[2:3], s[2:3], s[4:5]
	v_cmp_lt_i64_e32 vcc, -1, v[6:7]
	s_xor_b64 s[2:3], s[2:3], -1
	s_and_b64 s[2:3], vcc, s[2:3]
	s_and_saveexec_b64 s[20:21], s[2:3]
	s_cbranch_execz .LBB16_59
; %bb.2:
	v_cmp_lt_i64_e32 vcc, v[0:1], v[2:3]
	v_mov_b32_e32 v22, 3
	s_and_saveexec_b64 s[22:23], vcc
	s_cbranch_execz .LBB16_58
; %bb.3:
	s_load_dword s4, s[0:1], 0x0
	s_load_dwordx4 s[16:19], s[0:1], 0x20
	s_load_dwordx2 s[2:3], s[0:1], 0x30
	s_load_dwordx8 s[8:15], s[0:1], 0x40
	s_mov_b64 s[26:27], 0
	s_waitcnt lgkmcnt(0)
	s_cmp_lg_u32 s4, 0
	s_mul_i32 s4, s18, s17
	s_mul_hi_u32 s5, s18, s16
	s_cselect_b64 s[24:25], -1, 0
	s_add_i32 s4, s5, s4
	s_mul_i32 s5, s19, s16
	s_add_i32 s5, s4, s5
	s_mul_i32 s4, s18, s16
	s_cmp_lg_u32 s13, 0
	v_mul_lo_u32 v2, s5, v6
	v_mul_lo_u32 v3, s4, v7
	v_mad_u64_u32 v[0:1], s[34:35], s4, v6, 0
	s_cselect_b64 s[28:29], -1, 0
	s_cmp_lg_u32 s14, 0
	v_add3_u32 v1, v1, v3, v2
	s_cselect_b64 s[30:31], -1, 0
	s_cmp_lg_u32 s15, 0
	v_lshl_add_u64 v[0:1], v[0:1], 3, s[2:3]
	s_cselect_b64 s[14:15], -1, 0
	v_lshl_add_u64 v[0:1], v[0:1], 0, 4
	s_lshl_b64 s[34:35], s[4:5], 3
	s_lshl_b64 s[36:37], s[16:17], 3
	;; [unrolled: 1-line block ×3, first 2 shown]
	v_cmp_gt_i64_e64 s[40:41], s[16:17], 0
	s_mov_b32 s13, 0x7f800000
	v_cmp_gt_i64_e64 s[42:43], s[18:19], 0
	v_mov_b64_e32 v[2:3], v[6:7]
                                        ; implicit-def: $sgpr44_sgpr45
                                        ; implicit-def: $sgpr46_sgpr47
                                        ; implicit-def: $sgpr48_sgpr49
	s_branch .LBB16_9
.LBB16_4:                               ;   in Loop: Header=BB16_9 Depth=1
	s_or_b64 exec, exec, s[60:61]
	s_orn2_b64 s[60:61], s[4:5], exec
	s_orn2_b64 s[2:3], s[2:3], exec
.LBB16_5:                               ;   in Loop: Header=BB16_9 Depth=1
	s_or_b64 exec, exec, s[58:59]
	s_orn2_b64 s[58:59], s[60:61], exec
	s_orn2_b64 s[2:3], s[2:3], exec
.LBB16_6:                               ;   in Loop: Header=BB16_9 Depth=1
	s_or_b64 exec, exec, s[56:57]
	s_orn2_b64 s[4:5], s[58:59], exec
	s_orn2_b64 s[2:3], s[2:3], exec
.LBB16_7:                               ;   in Loop: Header=BB16_9 Depth=1
	s_or_b64 exec, exec, s[52:53]
	s_andn2_b64 s[48:49], s[48:49], exec
	s_and_b64 s[4:5], s[4:5], exec
	s_or_b64 s[48:49], s[48:49], s[4:5]
	s_andn2_b64 s[4:5], s[46:47], exec
	s_and_b64 s[2:3], s[2:3], exec
	s_or_b64 s[46:47], s[4:5], s[2:3]
.LBB16_8:                               ;   in Loop: Header=BB16_9 Depth=1
	s_or_b64 exec, exec, s[50:51]
	s_and_b64 s[2:3], exec, s[46:47]
	s_or_b64 s[26:27], s[2:3], s[26:27]
	s_andn2_b64 s[2:3], s[44:45], exec
	s_and_b64 s[4:5], s[48:49], exec
	s_or_b64 s[44:45], s[2:3], s[4:5]
	s_andn2_b64 exec, exec, s[26:27]
	s_cbranch_execz .LBB16_57
.LBB16_9:                               ; =>This Loop Header: Depth=1
                                        ;     Child Loop BB16_33 Depth 2
                                        ;       Child Loop BB16_37 Depth 3
                                        ;     Child Loop BB16_17 Depth 2
                                        ;       Child Loop BB16_21 Depth 3
	v_lshl_add_u64 v[12:13], v[2:3], 3, s[8:9]
	global_load_dwordx2 v[10:11], v[12:13], off
	v_mov_b32_e32 v22, 4
	s_or_b64 s[48:49], s[48:49], exec
	s_or_b64 s[46:47], s[46:47], exec
	s_waitcnt vmcnt(0)
	v_subrev_co_u32_e32 v14, vcc, s12, v10
	s_nop 1
	v_subbrev_co_u32_e32 v15, vcc, 0, v11, vcc
	v_cmp_lt_i64_e32 vcc, -1, v[14:15]
	v_cmp_gt_i64_e64 s[2:3], s[6:7], v[14:15]
	s_and_b64 s[2:3], vcc, s[2:3]
	s_and_saveexec_b64 s[50:51], s[2:3]
	s_cbranch_execz .LBB16_8
; %bb.10:                               ;   in Loop: Header=BB16_9 Depth=1
	v_cmp_le_i64_e64 s[54:55], v[2:3], v[6:7]
	v_cmp_gt_i64_e32 vcc, v[2:3], v[6:7]
	v_mov_b32_e32 v22, 4
	s_mov_b64 s[56:57], s[54:55]
	s_and_saveexec_b64 s[52:53], vcc
	s_cbranch_execz .LBB16_12
; %bb.11:                               ;   in Loop: Header=BB16_9 Depth=1
	v_lshl_add_u64 v[16:17], v[2:3], 3, s[10:11]
	global_load_dwordx4 v[16:19], v[16:17], off offset:-8
	v_mov_b32_e32 v22, 5
	s_waitcnt vmcnt(0)
	v_subrev_co_u32_e32 v20, vcc, s12, v16
	s_nop 1
	v_subbrev_co_u32_e32 v21, vcc, 0, v17, vcc
	v_cmp_lt_i64_e64 s[2:3], -1, v[20:21]
	v_cmp_gt_i64_e64 s[4:5], s[6:7], v[20:21]
	s_and_b64 s[2:3], s[2:3], s[4:5]
	v_cmp_ne_u64_e32 vcc, v[18:19], v[16:17]
	s_xor_b64 s[2:3], s[2:3], -1
	s_or_b64 s[2:3], vcc, s[2:3]
	s_andn2_b64 s[4:5], s[54:55], exec
	s_and_b64 s[2:3], s[2:3], exec
	s_or_b64 s[56:57], s[4:5], s[2:3]
.LBB16_12:                              ;   in Loop: Header=BB16_9 Depth=1
	s_or_b64 exec, exec, s[52:53]
	s_mov_b64 s[2:3], -1
	s_mov_b64 s[4:5], -1
	s_and_saveexec_b64 s[52:53], s[56:57]
	s_cbranch_execz .LBB16_7
; %bb.13:                               ;   in Loop: Header=BB16_9 Depth=1
	s_and_b64 vcc, exec, s[24:25]
	s_cbranch_vccz .LBB16_29
; %bb.14:                               ;   in Loop: Header=BB16_9 Depth=1
	s_and_b64 vcc, exec, s[42:43]
	s_cbranch_vccz .LBB16_28
; %bb.15:                               ;   in Loop: Header=BB16_9 Depth=1
	s_mov_b64 s[56:57], 0
	v_mov_b64_e32 v[16:17], v[0:1]
	s_mov_b64 s[58:59], 0
                                        ; implicit-def: $sgpr4_sgpr5
	s_branch .LBB16_17
.LBB16_16:                              ;   in Loop: Header=BB16_17 Depth=2
	s_or_b64 exec, exec, s[2:3]
	s_xor_b64 s[2:3], s[64:65], -1
	s_and_b64 s[60:61], exec, s[60:61]
	s_or_b64 s[56:57], s[60:61], s[56:57]
	s_andn2_b64 s[4:5], s[4:5], exec
	s_and_b64 s[2:3], s[2:3], exec
	s_or_b64 s[4:5], s[4:5], s[2:3]
	s_andn2_b64 exec, exec, s[56:57]
	s_cbranch_execz .LBB16_27
.LBB16_17:                              ;   Parent Loop BB16_9 Depth=1
                                        ; =>  This Loop Header: Depth=2
                                        ;       Child Loop BB16_21 Depth 3
	s_mov_b64 s[60:61], -1
	s_andn2_b64 vcc, exec, s[40:41]
	s_mov_b64 s[62:63], -1
                                        ; implicit-def: $vgpr22
	s_cbranch_vccnz .LBB16_25
; %bb.18:                               ;   in Loop: Header=BB16_17 Depth=2
	s_mov_b64 s[64:65], 0
	v_mov_b64_e32 v[18:19], v[16:17]
	s_mov_b64 s[70:71], s[16:17]
                                        ; implicit-def: $sgpr62_sgpr63
                                        ; implicit-def: $sgpr66_sgpr67
                                        ; implicit-def: $sgpr68_sgpr69
	s_branch .LBB16_21
.LBB16_19:                              ;   in Loop: Header=BB16_21 Depth=3
	s_or_b64 exec, exec, s[76:77]
	s_andn2_b64 s[68:69], s[68:69], exec
	s_and_b64 s[74:75], s[74:75], exec
	s_andn2_b64 s[66:67], s[66:67], exec
	s_and_b64 s[72:73], s[72:73], exec
	v_mov_b32_e32 v22, 2
	s_or_b64 s[68:69], s[68:69], s[74:75]
	s_or_b64 s[66:67], s[66:67], s[72:73]
.LBB16_20:                              ;   in Loop: Header=BB16_21 Depth=3
	s_or_b64 exec, exec, s[2:3]
	s_xor_b64 s[2:3], s[68:69], -1
	s_and_b64 s[72:73], exec, s[66:67]
	s_or_b64 s[64:65], s[72:73], s[64:65]
	s_andn2_b64 s[62:63], s[62:63], exec
	s_and_b64 s[2:3], s[2:3], exec
	s_or_b64 s[62:63], s[62:63], s[2:3]
	s_andn2_b64 exec, exec, s[64:65]
	s_cbranch_execz .LBB16_24
.LBB16_21:                              ;   Parent Loop BB16_9 Depth=1
                                        ;     Parent Loop BB16_17 Depth=2
                                        ; =>    This Inner Loop Header: Depth=3
	global_load_dwordx2 v[20:21], v[18:19], off offset:-4
	v_mov_b32_e32 v22, 1
	s_or_b64 s[68:69], s[68:69], exec
	s_or_b64 s[66:67], s[66:67], exec
	s_waitcnt vmcnt(0)
	v_cmp_neq_f32_e32 vcc, s13, v20
	v_cmp_neq_f32_e64 s[2:3], s13, v21
	s_and_b64 s[2:3], vcc, s[2:3]
	s_and_saveexec_b64 s[72:73], s[2:3]
	s_xor_b64 s[2:3], exec, s[72:73]
	s_cbranch_execz .LBB16_20
; %bb.22:                               ;   in Loop: Header=BB16_21 Depth=3
	v_cmp_o_f32_e32 vcc, v20, v21
	s_mov_b64 s[72:73], -1
	s_mov_b64 s[74:75], -1
	s_and_saveexec_b64 s[76:77], vcc
	s_cbranch_execz .LBB16_19
; %bb.23:                               ;   in Loop: Header=BB16_21 Depth=3
	s_add_u32 s70, s70, -1
	s_addc_u32 s71, s71, -1
	s_cmp_eq_u64 s[70:71], 0
	s_cselect_b64 s[72:73], -1, 0
	v_lshl_add_u64 v[18:19], v[18:19], 0, 8
	s_xor_b64 s[74:75], exec, -1
	s_orn2_b64 s[72:73], s[72:73], exec
	s_branch .LBB16_19
.LBB16_24:                              ;   in Loop: Header=BB16_17 Depth=2
	s_or_b64 exec, exec, s[64:65]
.LBB16_25:                              ;   in Loop: Header=BB16_17 Depth=2
	s_mov_b64 s[64:65], -1
	s_and_saveexec_b64 s[2:3], s[62:63]
	s_cbranch_execz .LBB16_16
; %bb.26:                               ;   in Loop: Header=BB16_17 Depth=2
	s_add_u32 s58, s58, 1
	s_addc_u32 s59, s59, 0
	s_cmp_eq_u64 s[58:59], s[18:19]
	s_cselect_b64 s[60:61], -1, 0
	v_lshl_add_u64 v[16:17], v[16:17], 0, s[36:37]
	s_xor_b64 s[64:65], exec, -1
	s_orn2_b64 s[60:61], s[60:61], exec
	s_branch .LBB16_16
.LBB16_27:                              ;   in Loop: Header=BB16_9 Depth=1
	s_or_b64 exec, exec, s[56:57]
.LBB16_28:                              ;   in Loop: Header=BB16_9 Depth=1
	s_branch .LBB16_44
.LBB16_29:                              ;   in Loop: Header=BB16_9 Depth=1
	s_mov_b64 s[4:5], 0
	s_and_b64 vcc, exec, s[2:3]
	s_cbranch_vccz .LBB16_44
; %bb.30:                               ;   in Loop: Header=BB16_9 Depth=1
	s_and_b64 vcc, exec, s[40:41]
	s_cbranch_vccz .LBB16_48
; %bb.31:                               ;   in Loop: Header=BB16_9 Depth=1
	s_mov_b64 s[56:57], 0
	v_mov_b64_e32 v[16:17], v[0:1]
	s_mov_b64 s[58:59], 0
                                        ; implicit-def: $sgpr4_sgpr5
	s_branch .LBB16_33
.LBB16_32:                              ;   in Loop: Header=BB16_33 Depth=2
	s_or_b64 exec, exec, s[2:3]
	s_xor_b64 s[2:3], s[64:65], -1
	s_and_b64 s[60:61], exec, s[60:61]
	s_or_b64 s[56:57], s[60:61], s[56:57]
	s_andn2_b64 s[4:5], s[4:5], exec
	s_and_b64 s[2:3], s[2:3], exec
	s_or_b64 s[4:5], s[4:5], s[2:3]
	s_andn2_b64 exec, exec, s[56:57]
	s_cbranch_execz .LBB16_43
.LBB16_33:                              ;   Parent Loop BB16_9 Depth=1
                                        ; =>  This Loop Header: Depth=2
                                        ;       Child Loop BB16_37 Depth 3
	s_mov_b64 s[60:61], -1
	s_andn2_b64 vcc, exec, s[42:43]
	s_mov_b64 s[62:63], -1
                                        ; implicit-def: $vgpr22
	s_cbranch_vccnz .LBB16_41
; %bb.34:                               ;   in Loop: Header=BB16_33 Depth=2
	s_mov_b64 s[64:65], 0
	v_mov_b64_e32 v[18:19], v[16:17]
	s_mov_b64 s[70:71], s[18:19]
                                        ; implicit-def: $sgpr62_sgpr63
                                        ; implicit-def: $sgpr66_sgpr67
                                        ; implicit-def: $sgpr68_sgpr69
	s_branch .LBB16_37
.LBB16_35:                              ;   in Loop: Header=BB16_37 Depth=3
	s_or_b64 exec, exec, s[76:77]
	s_andn2_b64 s[68:69], s[68:69], exec
	s_and_b64 s[74:75], s[74:75], exec
	s_andn2_b64 s[66:67], s[66:67], exec
	s_and_b64 s[72:73], s[72:73], exec
	v_mov_b32_e32 v22, 2
	s_or_b64 s[68:69], s[68:69], s[74:75]
	s_or_b64 s[66:67], s[66:67], s[72:73]
.LBB16_36:                              ;   in Loop: Header=BB16_37 Depth=3
	s_or_b64 exec, exec, s[2:3]
	s_xor_b64 s[2:3], s[68:69], -1
	s_and_b64 s[72:73], exec, s[66:67]
	s_or_b64 s[64:65], s[72:73], s[64:65]
	s_andn2_b64 s[62:63], s[62:63], exec
	s_and_b64 s[2:3], s[2:3], exec
	s_or_b64 s[62:63], s[62:63], s[2:3]
	s_andn2_b64 exec, exec, s[64:65]
	s_cbranch_execz .LBB16_40
.LBB16_37:                              ;   Parent Loop BB16_9 Depth=1
                                        ;     Parent Loop BB16_33 Depth=2
                                        ; =>    This Inner Loop Header: Depth=3
	global_load_dwordx2 v[20:21], v[18:19], off offset:-4
	v_mov_b32_e32 v22, 1
	s_or_b64 s[68:69], s[68:69], exec
	s_or_b64 s[66:67], s[66:67], exec
	s_waitcnt vmcnt(0)
	v_cmp_neq_f32_e32 vcc, s13, v20
	v_cmp_neq_f32_e64 s[2:3], s13, v21
	s_and_b64 s[2:3], vcc, s[2:3]
	s_and_saveexec_b64 s[72:73], s[2:3]
	s_xor_b64 s[2:3], exec, s[72:73]
	s_cbranch_execz .LBB16_36
; %bb.38:                               ;   in Loop: Header=BB16_37 Depth=3
	v_cmp_o_f32_e32 vcc, v20, v21
	s_mov_b64 s[72:73], -1
	s_mov_b64 s[74:75], -1
	s_and_saveexec_b64 s[76:77], vcc
	s_cbranch_execz .LBB16_35
; %bb.39:                               ;   in Loop: Header=BB16_37 Depth=3
	s_add_u32 s70, s70, -1
	s_addc_u32 s71, s71, -1
	s_cmp_eq_u64 s[70:71], 0
	s_cselect_b64 s[72:73], -1, 0
	v_lshl_add_u64 v[18:19], v[18:19], 0, 8
	s_xor_b64 s[74:75], exec, -1
	s_orn2_b64 s[72:73], s[72:73], exec
	s_branch .LBB16_35
.LBB16_40:                              ;   in Loop: Header=BB16_33 Depth=2
	s_or_b64 exec, exec, s[64:65]
.LBB16_41:                              ;   in Loop: Header=BB16_33 Depth=2
	s_mov_b64 s[64:65], -1
	s_and_saveexec_b64 s[2:3], s[62:63]
	s_cbranch_execz .LBB16_32
; %bb.42:                               ;   in Loop: Header=BB16_33 Depth=2
	s_add_u32 s58, s58, 1
	s_addc_u32 s59, s59, 0
	s_cmp_eq_u64 s[58:59], s[16:17]
	s_cselect_b64 s[60:61], -1, 0
	v_lshl_add_u64 v[16:17], v[16:17], 0, s[38:39]
	s_xor_b64 s[64:65], exec, -1
	s_orn2_b64 s[60:61], s[60:61], exec
	s_branch .LBB16_32
.LBB16_43:                              ;   in Loop: Header=BB16_9 Depth=1
	s_or_b64 exec, exec, s[56:57]
.LBB16_44:                              ;   in Loop: Header=BB16_9 Depth=1
	s_mov_b64 s[2:3], -1
	s_mov_b64 s[58:59], -1
	s_and_saveexec_b64 s[56:57], s[4:5]
	s_cbranch_execz .LBB16_6
.LBB16_45:                              ;   in Loop: Header=BB16_9 Depth=1
	s_and_b64 vcc, exec, s[28:29]
	s_cbranch_vccz .LBB16_49
; %bb.46:                               ;   in Loop: Header=BB16_9 Depth=1
	s_and_b64 vcc, exec, s[30:31]
	s_cbranch_vccz .LBB16_50
; %bb.47:                               ;   in Loop: Header=BB16_9 Depth=1
	v_cmp_ge_i64_e32 vcc, v[14:15], v[4:5]
	v_mov_b32_e32 v22, 7
	s_and_b64 s[4:5], vcc, exec
	s_cbranch_execz .LBB16_51
	s_branch .LBB16_52
.LBB16_48:                              ;   in Loop: Header=BB16_9 Depth=1
	s_mov_b64 s[4:5], -1
	s_mov_b64 s[2:3], -1
	;; [unrolled: 1-line block ×3, first 2 shown]
	s_and_saveexec_b64 s[56:57], s[4:5]
	s_cbranch_execz .LBB16_6
	s_branch .LBB16_45
.LBB16_49:                              ;   in Loop: Header=BB16_9 Depth=1
	s_mov_b64 s[4:5], -1
	s_branch .LBB16_52
.LBB16_50:                              ;   in Loop: Header=BB16_9 Depth=1
	s_mov_b64 s[4:5], 0
	s_andn2_b64 vcc, exec, s[58:59]
	s_cbranch_vccnz .LBB16_52
.LBB16_51:                              ;   in Loop: Header=BB16_9 Depth=1
	v_cmp_le_i64_e32 vcc, v[14:15], v[4:5]
	s_andn2_b64 s[4:5], s[4:5], exec
	s_and_b64 s[58:59], vcc, exec
	v_mov_b32_e32 v22, 7
	s_or_b64 s[4:5], s[4:5], s[58:59]
.LBB16_52:                              ;   in Loop: Header=BB16_9 Depth=1
	s_mov_b64 s[60:61], -1
	s_and_saveexec_b64 s[58:59], s[4:5]
	s_cbranch_execz .LBB16_5
; %bb.53:                               ;   in Loop: Header=BB16_9 Depth=1
	s_or_b64 s[54:55], s[14:15], s[54:55]
	s_xor_b64 s[2:3], s[54:55], -1
	s_and_saveexec_b64 s[60:61], s[2:3]
	s_cbranch_execz .LBB16_55
; %bb.54:                               ;   in Loop: Header=BB16_9 Depth=1
	global_load_dwordx2 v[12:13], v[12:13], off offset:-8
	v_mov_b32_e32 v22, 6
	s_waitcnt vmcnt(0)
	v_subrev_co_u32_e32 v14, vcc, s12, v12
	s_nop 1
	v_subbrev_co_u32_e32 v15, vcc, 0, v13, vcc
	v_cmp_lt_i64_e64 s[2:3], -1, v[14:15]
	v_cmp_gt_i64_e64 s[4:5], s[6:7], v[14:15]
	s_and_b64 s[2:3], s[2:3], s[4:5]
	v_cmp_gt_i64_e32 vcc, v[10:11], v[12:13]
	s_xor_b64 s[2:3], s[2:3], -1
	s_or_b64 s[2:3], vcc, s[2:3]
	s_andn2_b64 s[4:5], s[54:55], exec
	s_and_b64 s[2:3], s[2:3], exec
	s_or_b64 s[54:55], s[4:5], s[2:3]
.LBB16_55:                              ;   in Loop: Header=BB16_9 Depth=1
	s_or_b64 exec, exec, s[60:61]
	s_mov_b64 s[2:3], -1
	s_mov_b64 s[4:5], -1
	s_and_saveexec_b64 s[60:61], s[54:55]
	s_cbranch_execz .LBB16_4
; %bb.56:                               ;   in Loop: Header=BB16_9 Depth=1
	v_lshl_add_u64 v[2:3], v[2:3], 0, 1
	v_cmp_ge_i64_e32 vcc, v[2:3], v[8:9]
	v_lshl_add_u64 v[0:1], v[0:1], 0, s[34:35]
	s_xor_b64 s[4:5], exec, -1
	s_orn2_b64 s[2:3], vcc, exec
	s_branch .LBB16_4
.LBB16_57:
	s_or_b64 exec, exec, s[26:27]
	s_and_b64 s[8:9], s[44:45], exec
.LBB16_58:
	s_or_b64 exec, exec, s[22:23]
	s_orn2_b64 s[10:11], s[8:9], exec
.LBB16_59:
	s_or_b64 exec, exec, s[20:21]
	s_and_b64 exec, exec, s[10:11]
	s_cbranch_execz .LBB16_61
; %bb.60:
	s_load_dwordx2 s[0:1], s[0:1], 0x60
	v_mov_b32_e32 v0, 0
	s_waitcnt lgkmcnt(0)
	global_store_dword v0, v22, s[0:1]
.LBB16_61:
	s_endpgm
	.section	.rodata,"a",@progbits
	.p2align	6, 0x0
	.amdhsa_kernel _ZN9rocsparseL25check_matrix_gebsr_deviceILj256E21rocsparse_complex_numIfEllEEv20rocsparse_direction_T2_S4_T1_S4_S4_PKT0_PKS5_PKS4_SC_21rocsparse_index_base_22rocsparse_matrix_type_20rocsparse_fill_mode_23rocsparse_storage_mode_P22rocsparse_data_status_
		.amdhsa_group_segment_fixed_size 0
		.amdhsa_private_segment_fixed_size 0
		.amdhsa_kernarg_size 104
		.amdhsa_user_sgpr_count 2
		.amdhsa_user_sgpr_dispatch_ptr 0
		.amdhsa_user_sgpr_queue_ptr 0
		.amdhsa_user_sgpr_kernarg_segment_ptr 1
		.amdhsa_user_sgpr_dispatch_id 0
		.amdhsa_user_sgpr_kernarg_preload_length 0
		.amdhsa_user_sgpr_kernarg_preload_offset 0
		.amdhsa_user_sgpr_private_segment_size 0
		.amdhsa_uses_dynamic_stack 0
		.amdhsa_enable_private_segment 0
		.amdhsa_system_sgpr_workgroup_id_x 1
		.amdhsa_system_sgpr_workgroup_id_y 0
		.amdhsa_system_sgpr_workgroup_id_z 0
		.amdhsa_system_sgpr_workgroup_info 0
		.amdhsa_system_vgpr_workitem_id 0
		.amdhsa_next_free_vgpr 23
		.amdhsa_next_free_sgpr 78
		.amdhsa_accum_offset 24
		.amdhsa_reserve_vcc 1
		.amdhsa_float_round_mode_32 0
		.amdhsa_float_round_mode_16_64 0
		.amdhsa_float_denorm_mode_32 3
		.amdhsa_float_denorm_mode_16_64 3
		.amdhsa_dx10_clamp 1
		.amdhsa_ieee_mode 1
		.amdhsa_fp16_overflow 0
		.amdhsa_tg_split 0
		.amdhsa_exception_fp_ieee_invalid_op 0
		.amdhsa_exception_fp_denorm_src 0
		.amdhsa_exception_fp_ieee_div_zero 0
		.amdhsa_exception_fp_ieee_overflow 0
		.amdhsa_exception_fp_ieee_underflow 0
		.amdhsa_exception_fp_ieee_inexact 0
		.amdhsa_exception_int_div_zero 0
	.end_amdhsa_kernel
	.section	.text._ZN9rocsparseL25check_matrix_gebsr_deviceILj256E21rocsparse_complex_numIfEllEEv20rocsparse_direction_T2_S4_T1_S4_S4_PKT0_PKS5_PKS4_SC_21rocsparse_index_base_22rocsparse_matrix_type_20rocsparse_fill_mode_23rocsparse_storage_mode_P22rocsparse_data_status_,"axG",@progbits,_ZN9rocsparseL25check_matrix_gebsr_deviceILj256E21rocsparse_complex_numIfEllEEv20rocsparse_direction_T2_S4_T1_S4_S4_PKT0_PKS5_PKS4_SC_21rocsparse_index_base_22rocsparse_matrix_type_20rocsparse_fill_mode_23rocsparse_storage_mode_P22rocsparse_data_status_,comdat
.Lfunc_end16:
	.size	_ZN9rocsparseL25check_matrix_gebsr_deviceILj256E21rocsparse_complex_numIfEllEEv20rocsparse_direction_T2_S4_T1_S4_S4_PKT0_PKS5_PKS4_SC_21rocsparse_index_base_22rocsparse_matrix_type_20rocsparse_fill_mode_23rocsparse_storage_mode_P22rocsparse_data_status_, .Lfunc_end16-_ZN9rocsparseL25check_matrix_gebsr_deviceILj256E21rocsparse_complex_numIfEllEEv20rocsparse_direction_T2_S4_T1_S4_S4_PKT0_PKS5_PKS4_SC_21rocsparse_index_base_22rocsparse_matrix_type_20rocsparse_fill_mode_23rocsparse_storage_mode_P22rocsparse_data_status_
                                        ; -- End function
	.set _ZN9rocsparseL25check_matrix_gebsr_deviceILj256E21rocsparse_complex_numIfEllEEv20rocsparse_direction_T2_S4_T1_S4_S4_PKT0_PKS5_PKS4_SC_21rocsparse_index_base_22rocsparse_matrix_type_20rocsparse_fill_mode_23rocsparse_storage_mode_P22rocsparse_data_status_.num_vgpr, 23
	.set _ZN9rocsparseL25check_matrix_gebsr_deviceILj256E21rocsparse_complex_numIfEllEEv20rocsparse_direction_T2_S4_T1_S4_S4_PKT0_PKS5_PKS4_SC_21rocsparse_index_base_22rocsparse_matrix_type_20rocsparse_fill_mode_23rocsparse_storage_mode_P22rocsparse_data_status_.num_agpr, 0
	.set _ZN9rocsparseL25check_matrix_gebsr_deviceILj256E21rocsparse_complex_numIfEllEEv20rocsparse_direction_T2_S4_T1_S4_S4_PKT0_PKS5_PKS4_SC_21rocsparse_index_base_22rocsparse_matrix_type_20rocsparse_fill_mode_23rocsparse_storage_mode_P22rocsparse_data_status_.numbered_sgpr, 78
	.set _ZN9rocsparseL25check_matrix_gebsr_deviceILj256E21rocsparse_complex_numIfEllEEv20rocsparse_direction_T2_S4_T1_S4_S4_PKT0_PKS5_PKS4_SC_21rocsparse_index_base_22rocsparse_matrix_type_20rocsparse_fill_mode_23rocsparse_storage_mode_P22rocsparse_data_status_.num_named_barrier, 0
	.set _ZN9rocsparseL25check_matrix_gebsr_deviceILj256E21rocsparse_complex_numIfEllEEv20rocsparse_direction_T2_S4_T1_S4_S4_PKT0_PKS5_PKS4_SC_21rocsparse_index_base_22rocsparse_matrix_type_20rocsparse_fill_mode_23rocsparse_storage_mode_P22rocsparse_data_status_.private_seg_size, 0
	.set _ZN9rocsparseL25check_matrix_gebsr_deviceILj256E21rocsparse_complex_numIfEllEEv20rocsparse_direction_T2_S4_T1_S4_S4_PKT0_PKS5_PKS4_SC_21rocsparse_index_base_22rocsparse_matrix_type_20rocsparse_fill_mode_23rocsparse_storage_mode_P22rocsparse_data_status_.uses_vcc, 1
	.set _ZN9rocsparseL25check_matrix_gebsr_deviceILj256E21rocsparse_complex_numIfEllEEv20rocsparse_direction_T2_S4_T1_S4_S4_PKT0_PKS5_PKS4_SC_21rocsparse_index_base_22rocsparse_matrix_type_20rocsparse_fill_mode_23rocsparse_storage_mode_P22rocsparse_data_status_.uses_flat_scratch, 0
	.set _ZN9rocsparseL25check_matrix_gebsr_deviceILj256E21rocsparse_complex_numIfEllEEv20rocsparse_direction_T2_S4_T1_S4_S4_PKT0_PKS5_PKS4_SC_21rocsparse_index_base_22rocsparse_matrix_type_20rocsparse_fill_mode_23rocsparse_storage_mode_P22rocsparse_data_status_.has_dyn_sized_stack, 0
	.set _ZN9rocsparseL25check_matrix_gebsr_deviceILj256E21rocsparse_complex_numIfEllEEv20rocsparse_direction_T2_S4_T1_S4_S4_PKT0_PKS5_PKS4_SC_21rocsparse_index_base_22rocsparse_matrix_type_20rocsparse_fill_mode_23rocsparse_storage_mode_P22rocsparse_data_status_.has_recursion, 0
	.set _ZN9rocsparseL25check_matrix_gebsr_deviceILj256E21rocsparse_complex_numIfEllEEv20rocsparse_direction_T2_S4_T1_S4_S4_PKT0_PKS5_PKS4_SC_21rocsparse_index_base_22rocsparse_matrix_type_20rocsparse_fill_mode_23rocsparse_storage_mode_P22rocsparse_data_status_.has_indirect_call, 0
	.section	.AMDGPU.csdata,"",@progbits
; Kernel info:
; codeLenInByte = 1652
; TotalNumSgprs: 84
; NumVgprs: 23
; NumAgprs: 0
; TotalNumVgprs: 23
; ScratchSize: 0
; MemoryBound: 0
; FloatMode: 240
; IeeeMode: 1
; LDSByteSize: 0 bytes/workgroup (compile time only)
; SGPRBlocks: 10
; VGPRBlocks: 2
; NumSGPRsForWavesPerEU: 84
; NumVGPRsForWavesPerEU: 23
; AccumOffset: 24
; Occupancy: 8
; WaveLimiterHint : 0
; COMPUTE_PGM_RSRC2:SCRATCH_EN: 0
; COMPUTE_PGM_RSRC2:USER_SGPR: 2
; COMPUTE_PGM_RSRC2:TRAP_HANDLER: 0
; COMPUTE_PGM_RSRC2:TGID_X_EN: 1
; COMPUTE_PGM_RSRC2:TGID_Y_EN: 0
; COMPUTE_PGM_RSRC2:TGID_Z_EN: 0
; COMPUTE_PGM_RSRC2:TIDIG_COMP_CNT: 0
; COMPUTE_PGM_RSRC3_GFX90A:ACCUM_OFFSET: 5
; COMPUTE_PGM_RSRC3_GFX90A:TG_SPLIT: 0
	.section	.text._ZN9rocsparseL25check_matrix_gebsr_deviceILj256E21rocsparse_complex_numIdEllEEv20rocsparse_direction_T2_S4_T1_S4_S4_PKT0_PKS5_PKS4_SC_21rocsparse_index_base_22rocsparse_matrix_type_20rocsparse_fill_mode_23rocsparse_storage_mode_P22rocsparse_data_status_,"axG",@progbits,_ZN9rocsparseL25check_matrix_gebsr_deviceILj256E21rocsparse_complex_numIdEllEEv20rocsparse_direction_T2_S4_T1_S4_S4_PKT0_PKS5_PKS4_SC_21rocsparse_index_base_22rocsparse_matrix_type_20rocsparse_fill_mode_23rocsparse_storage_mode_P22rocsparse_data_status_,comdat
	.globl	_ZN9rocsparseL25check_matrix_gebsr_deviceILj256E21rocsparse_complex_numIdEllEEv20rocsparse_direction_T2_S4_T1_S4_S4_PKT0_PKS5_PKS4_SC_21rocsparse_index_base_22rocsparse_matrix_type_20rocsparse_fill_mode_23rocsparse_storage_mode_P22rocsparse_data_status_ ; -- Begin function _ZN9rocsparseL25check_matrix_gebsr_deviceILj256E21rocsparse_complex_numIdEllEEv20rocsparse_direction_T2_S4_T1_S4_S4_PKT0_PKS5_PKS4_SC_21rocsparse_index_base_22rocsparse_matrix_type_20rocsparse_fill_mode_23rocsparse_storage_mode_P22rocsparse_data_status_
	.p2align	8
	.type	_ZN9rocsparseL25check_matrix_gebsr_deviceILj256E21rocsparse_complex_numIdEllEEv20rocsparse_direction_T2_S4_T1_S4_S4_PKT0_PKS5_PKS4_SC_21rocsparse_index_base_22rocsparse_matrix_type_20rocsparse_fill_mode_23rocsparse_storage_mode_P22rocsparse_data_status_,@function
_ZN9rocsparseL25check_matrix_gebsr_deviceILj256E21rocsparse_complex_numIdEllEEv20rocsparse_direction_T2_S4_T1_S4_S4_PKT0_PKS5_PKS4_SC_21rocsparse_index_base_22rocsparse_matrix_type_20rocsparse_fill_mode_23rocsparse_storage_mode_P22rocsparse_data_status_: ; @_ZN9rocsparseL25check_matrix_gebsr_deviceILj256E21rocsparse_complex_numIdEllEEv20rocsparse_direction_T2_S4_T1_S4_S4_PKT0_PKS5_PKS4_SC_21rocsparse_index_base_22rocsparse_matrix_type_20rocsparse_fill_mode_23rocsparse_storage_mode_P22rocsparse_data_status_
; %bb.0:
	s_load_dwordx4 s[4:7], s[0:1], 0x8
	v_lshl_or_b32 v4, s2, 8, v0
	v_mov_b32_e32 v5, 0
	s_waitcnt lgkmcnt(0)
	v_cmp_gt_i64_e32 vcc, s[4:5], v[4:5]
	s_and_saveexec_b64 s[2:3], vcc
	s_cbranch_execz .LBB17_61
; %bb.1:
	s_load_dwordx2 s[2:3], s[0:1], 0x38
	v_mov_b32_e32 v24, 3
	s_mov_b64 s[10:11], -1
	s_mov_b64 s[8:9], 0
	s_waitcnt lgkmcnt(0)
	v_lshl_add_u64 v[0:1], v[4:5], 3, s[2:3]
	global_load_dwordx4 v[0:3], v[0:1], off
	s_load_dwordx2 s[2:3], s[2:3], 0x0
	s_waitcnt lgkmcnt(0)
	v_mov_b32_e32 v9, s3
	s_waitcnt vmcnt(0)
	v_subrev_co_u32_e32 v6, vcc, s2, v0
	s_nop 1
	v_subb_co_u32_e32 v7, vcc, v1, v9, vcc
	v_subrev_co_u32_e32 v8, vcc, s2, v2
	v_cmp_lt_i64_e64 s[4:5], v[2:3], v[0:1]
	s_nop 0
	v_subb_co_u32_e32 v9, vcc, v3, v9, vcc
	v_cmp_gt_i64_e64 s[2:3], 0, v[8:9]
	s_or_b64 s[2:3], s[2:3], s[4:5]
	v_cmp_lt_i64_e32 vcc, -1, v[6:7]
	s_xor_b64 s[2:3], s[2:3], -1
	s_and_b64 s[2:3], vcc, s[2:3]
	s_and_saveexec_b64 s[20:21], s[2:3]
	s_cbranch_execz .LBB17_59
; %bb.2:
	v_cmp_lt_i64_e32 vcc, v[0:1], v[2:3]
	v_mov_b32_e32 v24, 3
	s_and_saveexec_b64 s[22:23], vcc
	s_cbranch_execz .LBB17_58
; %bb.3:
	s_load_dword s4, s[0:1], 0x0
	s_load_dwordx4 s[16:19], s[0:1], 0x20
	s_load_dwordx2 s[2:3], s[0:1], 0x30
	s_load_dwordx8 s[8:15], s[0:1], 0x40
	s_mov_b32 s44, 0
	s_waitcnt lgkmcnt(0)
	s_cmp_lg_u32 s4, 0
	s_mul_i32 s4, s18, s17
	s_mul_hi_u32 s5, s18, s16
	s_cselect_b64 s[24:25], -1, 0
	s_add_i32 s4, s5, s4
	s_mul_i32 s5, s19, s16
	s_add_i32 s5, s4, s5
	s_mul_i32 s4, s18, s16
	s_cmp_lg_u32 s13, 0
	v_mul_lo_u32 v2, s5, v6
	v_mul_lo_u32 v3, s4, v7
	v_mad_u64_u32 v[0:1], s[36:37], s4, v6, 0
	s_cselect_b64 s[30:31], -1, 0
	s_cmp_lg_u32 s14, 0
	v_add3_u32 v1, v1, v3, v2
	s_cselect_b64 s[34:35], -1, 0
	s_cmp_lg_u32 s15, 0
	v_lshl_add_u64 v[0:1], v[0:1], 4, s[2:3]
	s_mov_b64 s[26:27], 0
	v_cmp_gt_i64_e64 s[28:29], s[18:19], 0
	s_cselect_b64 s[14:15], -1, 0
	v_lshl_add_u64 v[10:11], v[0:1], 0, 8
	s_lshl_b64 s[36:37], s[4:5], 4
	s_lshl_b64 s[38:39], s[16:17], 4
	;; [unrolled: 1-line block ×3, first 2 shown]
	v_cmp_gt_i64_e64 s[42:43], s[16:17], 0
	s_mov_b32 s45, 0x7ff00000
	v_mov_b64_e32 v[12:13], v[6:7]
                                        ; implicit-def: $sgpr46_sgpr47
                                        ; implicit-def: $sgpr48_sgpr49
                                        ; implicit-def: $sgpr50_sgpr51
	s_branch .LBB17_9
.LBB17_4:                               ;   in Loop: Header=BB17_9 Depth=1
	s_or_b64 exec, exec, s[62:63]
	s_orn2_b64 s[62:63], s[4:5], exec
	s_orn2_b64 s[2:3], s[2:3], exec
.LBB17_5:                               ;   in Loop: Header=BB17_9 Depth=1
	s_or_b64 exec, exec, s[60:61]
	s_orn2_b64 s[60:61], s[62:63], exec
	s_orn2_b64 s[2:3], s[2:3], exec
.LBB17_6:                               ;   in Loop: Header=BB17_9 Depth=1
	s_or_b64 exec, exec, s[58:59]
	s_orn2_b64 s[4:5], s[60:61], exec
	s_orn2_b64 s[2:3], s[2:3], exec
.LBB17_7:                               ;   in Loop: Header=BB17_9 Depth=1
	s_or_b64 exec, exec, s[54:55]
	s_andn2_b64 s[50:51], s[50:51], exec
	s_and_b64 s[4:5], s[4:5], exec
	s_or_b64 s[50:51], s[50:51], s[4:5]
	s_andn2_b64 s[4:5], s[48:49], exec
	s_and_b64 s[2:3], s[2:3], exec
	s_or_b64 s[48:49], s[4:5], s[2:3]
.LBB17_8:                               ;   in Loop: Header=BB17_9 Depth=1
	s_or_b64 exec, exec, s[52:53]
	s_and_b64 s[2:3], exec, s[48:49]
	s_or_b64 s[26:27], s[2:3], s[26:27]
	s_andn2_b64 s[2:3], s[46:47], exec
	s_and_b64 s[4:5], s[50:51], exec
	s_or_b64 s[46:47], s[2:3], s[4:5]
	s_andn2_b64 exec, exec, s[26:27]
	s_cbranch_execz .LBB17_57
.LBB17_9:                               ; =>This Loop Header: Depth=1
                                        ;     Child Loop BB17_33 Depth 2
                                        ;       Child Loop BB17_37 Depth 3
                                        ;     Child Loop BB17_17 Depth 2
                                        ;       Child Loop BB17_21 Depth 3
	v_lshl_add_u64 v[16:17], v[12:13], 3, s[8:9]
	global_load_dwordx2 v[14:15], v[16:17], off
	v_mov_b32_e32 v24, 4
	s_or_b64 s[50:51], s[50:51], exec
	s_or_b64 s[48:49], s[48:49], exec
	s_waitcnt vmcnt(0)
	v_subrev_co_u32_e32 v18, vcc, s12, v14
	s_nop 1
	v_subbrev_co_u32_e32 v19, vcc, 0, v15, vcc
	v_cmp_lt_i64_e32 vcc, -1, v[18:19]
	v_cmp_gt_i64_e64 s[2:3], s[6:7], v[18:19]
	s_and_b64 s[2:3], vcc, s[2:3]
	s_and_saveexec_b64 s[52:53], s[2:3]
	s_cbranch_execz .LBB17_8
; %bb.10:                               ;   in Loop: Header=BB17_9 Depth=1
	v_cmp_le_i64_e64 s[56:57], v[12:13], v[6:7]
	v_cmp_gt_i64_e32 vcc, v[12:13], v[6:7]
	v_mov_b32_e32 v24, 4
	s_mov_b64 s[58:59], s[56:57]
	s_and_saveexec_b64 s[54:55], vcc
	s_cbranch_execz .LBB17_12
; %bb.11:                               ;   in Loop: Header=BB17_9 Depth=1
	v_lshl_add_u64 v[0:1], v[12:13], 3, s[10:11]
	global_load_dwordx4 v[0:3], v[0:1], off offset:-8
	v_mov_b32_e32 v24, 5
	s_waitcnt vmcnt(0)
	v_subrev_co_u32_e32 v20, vcc, s12, v0
	s_nop 1
	v_subbrev_co_u32_e32 v21, vcc, 0, v1, vcc
	v_cmp_lt_i64_e64 s[2:3], -1, v[20:21]
	v_cmp_gt_i64_e64 s[4:5], s[6:7], v[20:21]
	s_and_b64 s[2:3], s[2:3], s[4:5]
	v_cmp_ne_u64_e32 vcc, v[2:3], v[0:1]
	s_xor_b64 s[2:3], s[2:3], -1
	s_or_b64 s[2:3], vcc, s[2:3]
	s_andn2_b64 s[4:5], s[56:57], exec
	s_and_b64 s[2:3], s[2:3], exec
	s_or_b64 s[58:59], s[4:5], s[2:3]
.LBB17_12:                              ;   in Loop: Header=BB17_9 Depth=1
	s_or_b64 exec, exec, s[54:55]
	s_mov_b64 s[2:3], -1
	s_mov_b64 s[4:5], -1
	s_and_saveexec_b64 s[54:55], s[58:59]
	s_cbranch_execz .LBB17_7
; %bb.13:                               ;   in Loop: Header=BB17_9 Depth=1
	s_and_b64 vcc, exec, s[24:25]
	s_cbranch_vccz .LBB17_29
; %bb.14:                               ;   in Loop: Header=BB17_9 Depth=1
	s_and_b64 vcc, exec, s[28:29]
	s_cbranch_vccz .LBB17_28
; %bb.15:                               ;   in Loop: Header=BB17_9 Depth=1
	s_mov_b64 s[58:59], 0
	v_mov_b64_e32 v[20:21], v[10:11]
	s_mov_b64 s[60:61], 0
                                        ; implicit-def: $sgpr4_sgpr5
	s_branch .LBB17_17
.LBB17_16:                              ;   in Loop: Header=BB17_17 Depth=2
	s_or_b64 exec, exec, s[2:3]
	s_xor_b64 s[2:3], s[66:67], -1
	s_and_b64 s[62:63], exec, s[62:63]
	s_or_b64 s[58:59], s[62:63], s[58:59]
	s_andn2_b64 s[4:5], s[4:5], exec
	s_and_b64 s[2:3], s[2:3], exec
	s_or_b64 s[4:5], s[4:5], s[2:3]
	s_andn2_b64 exec, exec, s[58:59]
	s_cbranch_execz .LBB17_27
.LBB17_17:                              ;   Parent Loop BB17_9 Depth=1
                                        ; =>  This Loop Header: Depth=2
                                        ;       Child Loop BB17_21 Depth 3
	s_mov_b64 s[62:63], -1
	s_andn2_b64 vcc, exec, s[42:43]
	s_mov_b64 s[64:65], -1
                                        ; implicit-def: $vgpr24
	s_cbranch_vccnz .LBB17_25
; %bb.18:                               ;   in Loop: Header=BB17_17 Depth=2
	s_mov_b64 s[66:67], 0
	v_mov_b64_e32 v[22:23], v[20:21]
	s_mov_b64 s[72:73], s[16:17]
                                        ; implicit-def: $sgpr64_sgpr65
                                        ; implicit-def: $sgpr68_sgpr69
                                        ; implicit-def: $sgpr70_sgpr71
	s_branch .LBB17_21
.LBB17_19:                              ;   in Loop: Header=BB17_21 Depth=3
	s_or_b64 exec, exec, s[78:79]
	s_andn2_b64 s[70:71], s[70:71], exec
	s_and_b64 s[76:77], s[76:77], exec
	s_andn2_b64 s[68:69], s[68:69], exec
	s_and_b64 s[74:75], s[74:75], exec
	v_mov_b32_e32 v24, 2
	s_or_b64 s[70:71], s[70:71], s[76:77]
	s_or_b64 s[68:69], s[68:69], s[74:75]
.LBB17_20:                              ;   in Loop: Header=BB17_21 Depth=3
	s_or_b64 exec, exec, s[2:3]
	s_xor_b64 s[2:3], s[70:71], -1
	s_and_b64 s[74:75], exec, s[68:69]
	s_or_b64 s[66:67], s[74:75], s[66:67]
	s_andn2_b64 s[64:65], s[64:65], exec
	s_and_b64 s[2:3], s[2:3], exec
	s_or_b64 s[64:65], s[64:65], s[2:3]
	s_andn2_b64 exec, exec, s[66:67]
	s_cbranch_execz .LBB17_24
.LBB17_21:                              ;   Parent Loop BB17_9 Depth=1
                                        ;     Parent Loop BB17_17 Depth=2
                                        ; =>    This Inner Loop Header: Depth=3
	global_load_dwordx4 v[0:3], v[22:23], off offset:-8
	v_mov_b32_e32 v24, 1
	s_or_b64 s[70:71], s[70:71], exec
	s_or_b64 s[68:69], s[68:69], exec
	s_waitcnt vmcnt(0)
	v_cmp_neq_f64_e32 vcc, s[44:45], v[0:1]
	v_cmp_neq_f64_e64 s[2:3], s[44:45], v[2:3]
	s_and_b64 s[2:3], vcc, s[2:3]
	s_and_saveexec_b64 s[74:75], s[2:3]
	s_xor_b64 s[2:3], exec, s[74:75]
	s_cbranch_execz .LBB17_20
; %bb.22:                               ;   in Loop: Header=BB17_21 Depth=3
	v_cmp_o_f64_e32 vcc, v[0:1], v[2:3]
	s_mov_b64 s[74:75], -1
	s_mov_b64 s[76:77], -1
	s_and_saveexec_b64 s[78:79], vcc
	s_cbranch_execz .LBB17_19
; %bb.23:                               ;   in Loop: Header=BB17_21 Depth=3
	s_add_u32 s72, s72, -1
	s_addc_u32 s73, s73, -1
	s_cmp_eq_u64 s[72:73], 0
	s_cselect_b64 s[74:75], -1, 0
	v_lshl_add_u64 v[22:23], v[22:23], 0, 16
	s_xor_b64 s[76:77], exec, -1
	s_orn2_b64 s[74:75], s[74:75], exec
	s_branch .LBB17_19
.LBB17_24:                              ;   in Loop: Header=BB17_17 Depth=2
	s_or_b64 exec, exec, s[66:67]
.LBB17_25:                              ;   in Loop: Header=BB17_17 Depth=2
	s_mov_b64 s[66:67], -1
	s_and_saveexec_b64 s[2:3], s[64:65]
	s_cbranch_execz .LBB17_16
; %bb.26:                               ;   in Loop: Header=BB17_17 Depth=2
	s_add_u32 s60, s60, 1
	s_addc_u32 s61, s61, 0
	s_cmp_eq_u64 s[60:61], s[18:19]
	s_cselect_b64 s[62:63], -1, 0
	v_lshl_add_u64 v[20:21], v[20:21], 0, s[38:39]
	s_xor_b64 s[66:67], exec, -1
	s_orn2_b64 s[62:63], s[62:63], exec
	s_branch .LBB17_16
.LBB17_27:                              ;   in Loop: Header=BB17_9 Depth=1
	s_or_b64 exec, exec, s[58:59]
.LBB17_28:                              ;   in Loop: Header=BB17_9 Depth=1
	s_branch .LBB17_44
.LBB17_29:                              ;   in Loop: Header=BB17_9 Depth=1
	s_mov_b64 s[4:5], 0
	s_and_b64 vcc, exec, s[2:3]
	s_cbranch_vccz .LBB17_44
; %bb.30:                               ;   in Loop: Header=BB17_9 Depth=1
	s_and_b64 vcc, exec, s[42:43]
	s_cbranch_vccz .LBB17_48
; %bb.31:                               ;   in Loop: Header=BB17_9 Depth=1
	s_mov_b64 s[58:59], 0
	v_mov_b64_e32 v[20:21], v[10:11]
	s_mov_b64 s[60:61], 0
                                        ; implicit-def: $sgpr4_sgpr5
	s_branch .LBB17_33
.LBB17_32:                              ;   in Loop: Header=BB17_33 Depth=2
	s_or_b64 exec, exec, s[2:3]
	s_xor_b64 s[2:3], s[66:67], -1
	s_and_b64 s[62:63], exec, s[62:63]
	s_or_b64 s[58:59], s[62:63], s[58:59]
	s_andn2_b64 s[4:5], s[4:5], exec
	s_and_b64 s[2:3], s[2:3], exec
	s_or_b64 s[4:5], s[4:5], s[2:3]
	s_andn2_b64 exec, exec, s[58:59]
	s_cbranch_execz .LBB17_43
.LBB17_33:                              ;   Parent Loop BB17_9 Depth=1
                                        ; =>  This Loop Header: Depth=2
                                        ;       Child Loop BB17_37 Depth 3
	s_mov_b64 s[62:63], -1
	s_andn2_b64 vcc, exec, s[28:29]
	s_mov_b64 s[64:65], -1
                                        ; implicit-def: $vgpr24
	s_cbranch_vccnz .LBB17_41
; %bb.34:                               ;   in Loop: Header=BB17_33 Depth=2
	s_mov_b64 s[66:67], 0
	v_mov_b64_e32 v[22:23], v[20:21]
	s_mov_b64 s[72:73], s[18:19]
                                        ; implicit-def: $sgpr64_sgpr65
                                        ; implicit-def: $sgpr68_sgpr69
                                        ; implicit-def: $sgpr70_sgpr71
	s_branch .LBB17_37
.LBB17_35:                              ;   in Loop: Header=BB17_37 Depth=3
	s_or_b64 exec, exec, s[78:79]
	s_andn2_b64 s[70:71], s[70:71], exec
	s_and_b64 s[76:77], s[76:77], exec
	s_andn2_b64 s[68:69], s[68:69], exec
	s_and_b64 s[74:75], s[74:75], exec
	v_mov_b32_e32 v24, 2
	s_or_b64 s[70:71], s[70:71], s[76:77]
	s_or_b64 s[68:69], s[68:69], s[74:75]
.LBB17_36:                              ;   in Loop: Header=BB17_37 Depth=3
	s_or_b64 exec, exec, s[2:3]
	s_xor_b64 s[2:3], s[70:71], -1
	s_and_b64 s[74:75], exec, s[68:69]
	s_or_b64 s[66:67], s[74:75], s[66:67]
	s_andn2_b64 s[64:65], s[64:65], exec
	s_and_b64 s[2:3], s[2:3], exec
	s_or_b64 s[64:65], s[64:65], s[2:3]
	s_andn2_b64 exec, exec, s[66:67]
	s_cbranch_execz .LBB17_40
.LBB17_37:                              ;   Parent Loop BB17_9 Depth=1
                                        ;     Parent Loop BB17_33 Depth=2
                                        ; =>    This Inner Loop Header: Depth=3
	global_load_dwordx4 v[0:3], v[22:23], off offset:-8
	v_mov_b32_e32 v24, 1
	s_or_b64 s[70:71], s[70:71], exec
	s_or_b64 s[68:69], s[68:69], exec
	s_waitcnt vmcnt(0)
	v_cmp_neq_f64_e32 vcc, s[44:45], v[0:1]
	v_cmp_neq_f64_e64 s[2:3], s[44:45], v[2:3]
	s_and_b64 s[2:3], vcc, s[2:3]
	s_and_saveexec_b64 s[74:75], s[2:3]
	s_xor_b64 s[2:3], exec, s[74:75]
	s_cbranch_execz .LBB17_36
; %bb.38:                               ;   in Loop: Header=BB17_37 Depth=3
	v_cmp_o_f64_e32 vcc, v[0:1], v[2:3]
	s_mov_b64 s[74:75], -1
	s_mov_b64 s[76:77], -1
	s_and_saveexec_b64 s[78:79], vcc
	s_cbranch_execz .LBB17_35
; %bb.39:                               ;   in Loop: Header=BB17_37 Depth=3
	s_add_u32 s72, s72, -1
	s_addc_u32 s73, s73, -1
	s_cmp_eq_u64 s[72:73], 0
	s_cselect_b64 s[74:75], -1, 0
	v_lshl_add_u64 v[22:23], v[22:23], 0, 16
	s_xor_b64 s[76:77], exec, -1
	s_orn2_b64 s[74:75], s[74:75], exec
	s_branch .LBB17_35
.LBB17_40:                              ;   in Loop: Header=BB17_33 Depth=2
	s_or_b64 exec, exec, s[66:67]
.LBB17_41:                              ;   in Loop: Header=BB17_33 Depth=2
	s_mov_b64 s[66:67], -1
	s_and_saveexec_b64 s[2:3], s[64:65]
	s_cbranch_execz .LBB17_32
; %bb.42:                               ;   in Loop: Header=BB17_33 Depth=2
	s_add_u32 s60, s60, 1
	s_addc_u32 s61, s61, 0
	s_cmp_eq_u64 s[60:61], s[16:17]
	s_cselect_b64 s[62:63], -1, 0
	v_lshl_add_u64 v[20:21], v[20:21], 0, s[40:41]
	s_xor_b64 s[66:67], exec, -1
	s_orn2_b64 s[62:63], s[62:63], exec
	s_branch .LBB17_32
.LBB17_43:                              ;   in Loop: Header=BB17_9 Depth=1
	s_or_b64 exec, exec, s[58:59]
.LBB17_44:                              ;   in Loop: Header=BB17_9 Depth=1
	s_mov_b64 s[2:3], -1
	s_mov_b64 s[60:61], -1
	s_and_saveexec_b64 s[58:59], s[4:5]
	s_cbranch_execz .LBB17_6
.LBB17_45:                              ;   in Loop: Header=BB17_9 Depth=1
	s_and_b64 vcc, exec, s[30:31]
	s_cbranch_vccz .LBB17_49
; %bb.46:                               ;   in Loop: Header=BB17_9 Depth=1
	s_and_b64 vcc, exec, s[34:35]
	s_cbranch_vccz .LBB17_50
; %bb.47:                               ;   in Loop: Header=BB17_9 Depth=1
	v_cmp_ge_i64_e32 vcc, v[18:19], v[4:5]
	v_mov_b32_e32 v24, 7
	s_and_b64 s[4:5], vcc, exec
	s_cbranch_execz .LBB17_51
	s_branch .LBB17_52
.LBB17_48:                              ;   in Loop: Header=BB17_9 Depth=1
	s_mov_b64 s[4:5], -1
	s_mov_b64 s[2:3], -1
	;; [unrolled: 1-line block ×3, first 2 shown]
	s_and_saveexec_b64 s[58:59], s[4:5]
	s_cbranch_execz .LBB17_6
	s_branch .LBB17_45
.LBB17_49:                              ;   in Loop: Header=BB17_9 Depth=1
	s_mov_b64 s[4:5], -1
	s_branch .LBB17_52
.LBB17_50:                              ;   in Loop: Header=BB17_9 Depth=1
	s_mov_b64 s[4:5], 0
	s_andn2_b64 vcc, exec, s[60:61]
	s_cbranch_vccnz .LBB17_52
.LBB17_51:                              ;   in Loop: Header=BB17_9 Depth=1
	v_cmp_le_i64_e32 vcc, v[18:19], v[4:5]
	s_andn2_b64 s[4:5], s[4:5], exec
	s_and_b64 s[60:61], vcc, exec
	v_mov_b32_e32 v24, 7
	s_or_b64 s[4:5], s[4:5], s[60:61]
.LBB17_52:                              ;   in Loop: Header=BB17_9 Depth=1
	s_mov_b64 s[62:63], -1
	s_and_saveexec_b64 s[60:61], s[4:5]
	s_cbranch_execz .LBB17_5
; %bb.53:                               ;   in Loop: Header=BB17_9 Depth=1
	s_or_b64 s[56:57], s[14:15], s[56:57]
	s_xor_b64 s[2:3], s[56:57], -1
	s_and_saveexec_b64 s[62:63], s[2:3]
	s_cbranch_execz .LBB17_55
; %bb.54:                               ;   in Loop: Header=BB17_9 Depth=1
	global_load_dwordx2 v[0:1], v[16:17], off offset:-8
	v_mov_b32_e32 v24, 6
	s_waitcnt vmcnt(0)
	v_subrev_co_u32_e32 v2, vcc, s12, v0
	s_nop 1
	v_subbrev_co_u32_e32 v3, vcc, 0, v1, vcc
	v_cmp_lt_i64_e64 s[2:3], -1, v[2:3]
	v_cmp_gt_i64_e64 s[4:5], s[6:7], v[2:3]
	s_and_b64 s[2:3], s[2:3], s[4:5]
	v_cmp_gt_i64_e32 vcc, v[14:15], v[0:1]
	s_xor_b64 s[2:3], s[2:3], -1
	s_or_b64 s[2:3], vcc, s[2:3]
	s_andn2_b64 s[4:5], s[56:57], exec
	s_and_b64 s[2:3], s[2:3], exec
	s_or_b64 s[56:57], s[4:5], s[2:3]
.LBB17_55:                              ;   in Loop: Header=BB17_9 Depth=1
	s_or_b64 exec, exec, s[62:63]
	s_mov_b64 s[2:3], -1
	s_mov_b64 s[4:5], -1
	s_and_saveexec_b64 s[62:63], s[56:57]
	s_cbranch_execz .LBB17_4
; %bb.56:                               ;   in Loop: Header=BB17_9 Depth=1
	v_lshl_add_u64 v[12:13], v[12:13], 0, 1
	v_cmp_ge_i64_e32 vcc, v[12:13], v[8:9]
	v_lshl_add_u64 v[10:11], v[10:11], 0, s[36:37]
	s_xor_b64 s[4:5], exec, -1
	s_orn2_b64 s[2:3], vcc, exec
	s_branch .LBB17_4
.LBB17_57:
	s_or_b64 exec, exec, s[26:27]
	s_and_b64 s[8:9], s[46:47], exec
.LBB17_58:
	s_or_b64 exec, exec, s[22:23]
	s_orn2_b64 s[10:11], s[8:9], exec
.LBB17_59:
	s_or_b64 exec, exec, s[20:21]
	s_and_b64 exec, exec, s[10:11]
	s_cbranch_execz .LBB17_61
; %bb.60:
	s_load_dwordx2 s[0:1], s[0:1], 0x60
	v_mov_b32_e32 v0, 0
	s_waitcnt lgkmcnt(0)
	global_store_dword v0, v24, s[0:1]
.LBB17_61:
	s_endpgm
	.section	.rodata,"a",@progbits
	.p2align	6, 0x0
	.amdhsa_kernel _ZN9rocsparseL25check_matrix_gebsr_deviceILj256E21rocsparse_complex_numIdEllEEv20rocsparse_direction_T2_S4_T1_S4_S4_PKT0_PKS5_PKS4_SC_21rocsparse_index_base_22rocsparse_matrix_type_20rocsparse_fill_mode_23rocsparse_storage_mode_P22rocsparse_data_status_
		.amdhsa_group_segment_fixed_size 0
		.amdhsa_private_segment_fixed_size 0
		.amdhsa_kernarg_size 104
		.amdhsa_user_sgpr_count 2
		.amdhsa_user_sgpr_dispatch_ptr 0
		.amdhsa_user_sgpr_queue_ptr 0
		.amdhsa_user_sgpr_kernarg_segment_ptr 1
		.amdhsa_user_sgpr_dispatch_id 0
		.amdhsa_user_sgpr_kernarg_preload_length 0
		.amdhsa_user_sgpr_kernarg_preload_offset 0
		.amdhsa_user_sgpr_private_segment_size 0
		.amdhsa_uses_dynamic_stack 0
		.amdhsa_enable_private_segment 0
		.amdhsa_system_sgpr_workgroup_id_x 1
		.amdhsa_system_sgpr_workgroup_id_y 0
		.amdhsa_system_sgpr_workgroup_id_z 0
		.amdhsa_system_sgpr_workgroup_info 0
		.amdhsa_system_vgpr_workitem_id 0
		.amdhsa_next_free_vgpr 25
		.amdhsa_next_free_sgpr 80
		.amdhsa_accum_offset 28
		.amdhsa_reserve_vcc 1
		.amdhsa_float_round_mode_32 0
		.amdhsa_float_round_mode_16_64 0
		.amdhsa_float_denorm_mode_32 3
		.amdhsa_float_denorm_mode_16_64 3
		.amdhsa_dx10_clamp 1
		.amdhsa_ieee_mode 1
		.amdhsa_fp16_overflow 0
		.amdhsa_tg_split 0
		.amdhsa_exception_fp_ieee_invalid_op 0
		.amdhsa_exception_fp_denorm_src 0
		.amdhsa_exception_fp_ieee_div_zero 0
		.amdhsa_exception_fp_ieee_overflow 0
		.amdhsa_exception_fp_ieee_underflow 0
		.amdhsa_exception_fp_ieee_inexact 0
		.amdhsa_exception_int_div_zero 0
	.end_amdhsa_kernel
	.section	.text._ZN9rocsparseL25check_matrix_gebsr_deviceILj256E21rocsparse_complex_numIdEllEEv20rocsparse_direction_T2_S4_T1_S4_S4_PKT0_PKS5_PKS4_SC_21rocsparse_index_base_22rocsparse_matrix_type_20rocsparse_fill_mode_23rocsparse_storage_mode_P22rocsparse_data_status_,"axG",@progbits,_ZN9rocsparseL25check_matrix_gebsr_deviceILj256E21rocsparse_complex_numIdEllEEv20rocsparse_direction_T2_S4_T1_S4_S4_PKT0_PKS5_PKS4_SC_21rocsparse_index_base_22rocsparse_matrix_type_20rocsparse_fill_mode_23rocsparse_storage_mode_P22rocsparse_data_status_,comdat
.Lfunc_end17:
	.size	_ZN9rocsparseL25check_matrix_gebsr_deviceILj256E21rocsparse_complex_numIdEllEEv20rocsparse_direction_T2_S4_T1_S4_S4_PKT0_PKS5_PKS4_SC_21rocsparse_index_base_22rocsparse_matrix_type_20rocsparse_fill_mode_23rocsparse_storage_mode_P22rocsparse_data_status_, .Lfunc_end17-_ZN9rocsparseL25check_matrix_gebsr_deviceILj256E21rocsparse_complex_numIdEllEEv20rocsparse_direction_T2_S4_T1_S4_S4_PKT0_PKS5_PKS4_SC_21rocsparse_index_base_22rocsparse_matrix_type_20rocsparse_fill_mode_23rocsparse_storage_mode_P22rocsparse_data_status_
                                        ; -- End function
	.set _ZN9rocsparseL25check_matrix_gebsr_deviceILj256E21rocsparse_complex_numIdEllEEv20rocsparse_direction_T2_S4_T1_S4_S4_PKT0_PKS5_PKS4_SC_21rocsparse_index_base_22rocsparse_matrix_type_20rocsparse_fill_mode_23rocsparse_storage_mode_P22rocsparse_data_status_.num_vgpr, 25
	.set _ZN9rocsparseL25check_matrix_gebsr_deviceILj256E21rocsparse_complex_numIdEllEEv20rocsparse_direction_T2_S4_T1_S4_S4_PKT0_PKS5_PKS4_SC_21rocsparse_index_base_22rocsparse_matrix_type_20rocsparse_fill_mode_23rocsparse_storage_mode_P22rocsparse_data_status_.num_agpr, 0
	.set _ZN9rocsparseL25check_matrix_gebsr_deviceILj256E21rocsparse_complex_numIdEllEEv20rocsparse_direction_T2_S4_T1_S4_S4_PKT0_PKS5_PKS4_SC_21rocsparse_index_base_22rocsparse_matrix_type_20rocsparse_fill_mode_23rocsparse_storage_mode_P22rocsparse_data_status_.numbered_sgpr, 80
	.set _ZN9rocsparseL25check_matrix_gebsr_deviceILj256E21rocsparse_complex_numIdEllEEv20rocsparse_direction_T2_S4_T1_S4_S4_PKT0_PKS5_PKS4_SC_21rocsparse_index_base_22rocsparse_matrix_type_20rocsparse_fill_mode_23rocsparse_storage_mode_P22rocsparse_data_status_.num_named_barrier, 0
	.set _ZN9rocsparseL25check_matrix_gebsr_deviceILj256E21rocsparse_complex_numIdEllEEv20rocsparse_direction_T2_S4_T1_S4_S4_PKT0_PKS5_PKS4_SC_21rocsparse_index_base_22rocsparse_matrix_type_20rocsparse_fill_mode_23rocsparse_storage_mode_P22rocsparse_data_status_.private_seg_size, 0
	.set _ZN9rocsparseL25check_matrix_gebsr_deviceILj256E21rocsparse_complex_numIdEllEEv20rocsparse_direction_T2_S4_T1_S4_S4_PKT0_PKS5_PKS4_SC_21rocsparse_index_base_22rocsparse_matrix_type_20rocsparse_fill_mode_23rocsparse_storage_mode_P22rocsparse_data_status_.uses_vcc, 1
	.set _ZN9rocsparseL25check_matrix_gebsr_deviceILj256E21rocsparse_complex_numIdEllEEv20rocsparse_direction_T2_S4_T1_S4_S4_PKT0_PKS5_PKS4_SC_21rocsparse_index_base_22rocsparse_matrix_type_20rocsparse_fill_mode_23rocsparse_storage_mode_P22rocsparse_data_status_.uses_flat_scratch, 0
	.set _ZN9rocsparseL25check_matrix_gebsr_deviceILj256E21rocsparse_complex_numIdEllEEv20rocsparse_direction_T2_S4_T1_S4_S4_PKT0_PKS5_PKS4_SC_21rocsparse_index_base_22rocsparse_matrix_type_20rocsparse_fill_mode_23rocsparse_storage_mode_P22rocsparse_data_status_.has_dyn_sized_stack, 0
	.set _ZN9rocsparseL25check_matrix_gebsr_deviceILj256E21rocsparse_complex_numIdEllEEv20rocsparse_direction_T2_S4_T1_S4_S4_PKT0_PKS5_PKS4_SC_21rocsparse_index_base_22rocsparse_matrix_type_20rocsparse_fill_mode_23rocsparse_storage_mode_P22rocsparse_data_status_.has_recursion, 0
	.set _ZN9rocsparseL25check_matrix_gebsr_deviceILj256E21rocsparse_complex_numIdEllEEv20rocsparse_direction_T2_S4_T1_S4_S4_PKT0_PKS5_PKS4_SC_21rocsparse_index_base_22rocsparse_matrix_type_20rocsparse_fill_mode_23rocsparse_storage_mode_P22rocsparse_data_status_.has_indirect_call, 0
	.section	.AMDGPU.csdata,"",@progbits
; Kernel info:
; codeLenInByte = 1656
; TotalNumSgprs: 86
; NumVgprs: 25
; NumAgprs: 0
; TotalNumVgprs: 25
; ScratchSize: 0
; MemoryBound: 0
; FloatMode: 240
; IeeeMode: 1
; LDSByteSize: 0 bytes/workgroup (compile time only)
; SGPRBlocks: 10
; VGPRBlocks: 3
; NumSGPRsForWavesPerEU: 86
; NumVGPRsForWavesPerEU: 25
; AccumOffset: 28
; Occupancy: 8
; WaveLimiterHint : 0
; COMPUTE_PGM_RSRC2:SCRATCH_EN: 0
; COMPUTE_PGM_RSRC2:USER_SGPR: 2
; COMPUTE_PGM_RSRC2:TRAP_HANDLER: 0
; COMPUTE_PGM_RSRC2:TGID_X_EN: 1
; COMPUTE_PGM_RSRC2:TGID_Y_EN: 0
; COMPUTE_PGM_RSRC2:TGID_Z_EN: 0
; COMPUTE_PGM_RSRC2:TIDIG_COMP_CNT: 0
; COMPUTE_PGM_RSRC3_GFX90A:ACCUM_OFFSET: 6
; COMPUTE_PGM_RSRC3_GFX90A:TG_SPLIT: 0
	.section	.AMDGPU.gpr_maximums,"",@progbits
	.set amdgpu.max_num_vgpr, 0
	.set amdgpu.max_num_agpr, 0
	.set amdgpu.max_num_sgpr, 0
	.section	.AMDGPU.csdata,"",@progbits
	.type	__hip_cuid_863d455e4af07a9a,@object ; @__hip_cuid_863d455e4af07a9a
	.section	.bss,"aw",@nobits
	.globl	__hip_cuid_863d455e4af07a9a
__hip_cuid_863d455e4af07a9a:
	.byte	0                               ; 0x0
	.size	__hip_cuid_863d455e4af07a9a, 1

	.ident	"AMD clang version 22.0.0git (https://github.com/RadeonOpenCompute/llvm-project roc-7.2.4 26084 f58b06dce1f9c15707c5f808fd002e18c2accf7e)"
	.section	".note.GNU-stack","",@progbits
	.addrsig
	.addrsig_sym __hip_cuid_863d455e4af07a9a
	.amdgpu_metadata
---
amdhsa.kernels:
  - .agpr_count:     0
    .args:
      - .offset:         0
        .size:           4
        .value_kind:     by_value
      - .actual_access:  read_only
        .address_space:  global
        .offset:         8
        .size:           8
        .value_kind:     global_buffer
      - .address_space:  global
        .offset:         16
        .size:           8
        .value_kind:     global_buffer
    .group_segment_fixed_size: 0
    .kernarg_segment_align: 8
    .kernarg_segment_size: 24
    .language:       OpenCL C
    .language_version:
      - 2
      - 0
    .max_flat_workgroup_size: 256
    .name:           _ZN9rocsparseL19check_row_ptr_arrayILj256EiiEEvT1_PKT0_P22rocsparse_data_status_
    .private_segment_fixed_size: 0
    .sgpr_count:     10
    .sgpr_spill_count: 0
    .symbol:         _ZN9rocsparseL19check_row_ptr_arrayILj256EiiEEvT1_PKT0_P22rocsparse_data_status_.kd
    .uniform_work_group_size: 1
    .uses_dynamic_stack: false
    .vgpr_count:     2
    .vgpr_spill_count: 0
    .wavefront_size: 64
  - .agpr_count:     0
    .args:
      - .offset:         0
        .size:           4
        .value_kind:     by_value
      - .actual_access:  read_only
        .address_space:  global
        .offset:         8
        .size:           8
        .value_kind:     global_buffer
      - .actual_access:  write_only
        .address_space:  global
        .offset:         16
        .size:           8
        .value_kind:     global_buffer
    .group_segment_fixed_size: 0
    .kernarg_segment_align: 8
    .kernarg_segment_size: 24
    .language:       OpenCL C
    .language_version:
      - 2
      - 0
    .max_flat_workgroup_size: 512
    .name:           _ZN9rocsparseL20shift_offsets_kernelILj512EiiEEvT1_PKT0_PS2_
    .private_segment_fixed_size: 0
    .sgpr_count:     14
    .sgpr_spill_count: 0
    .symbol:         _ZN9rocsparseL20shift_offsets_kernelILj512EiiEEvT1_PKT0_PS2_.kd
    .uniform_work_group_size: 1
    .uses_dynamic_stack: false
    .vgpr_count:     4
    .vgpr_spill_count: 0
    .wavefront_size: 64
  - .agpr_count:     0
    .args:
      - .offset:         0
        .size:           4
        .value_kind:     by_value
      - .offset:         4
        .size:           4
        .value_kind:     by_value
      - .offset:         8
        .size:           4
        .value_kind:     by_value
      - .offset:         12
        .size:           4
        .value_kind:     by_value
      - .offset:         16
        .size:           4
        .value_kind:     by_value
      - .offset:         20
        .size:           4
        .value_kind:     by_value
      - .actual_access:  read_only
        .address_space:  global
        .offset:         24
        .size:           8
        .value_kind:     global_buffer
      - .actual_access:  read_only
        .address_space:  global
        .offset:         32
        .size:           8
        .value_kind:     global_buffer
      - .address_space:  global
        .offset:         40
        .size:           8
        .value_kind:     global_buffer
      - .address_space:  global
        .offset:         48
        .size:           8
        .value_kind:     global_buffer
      - .offset:         56
        .size:           4
        .value_kind:     by_value
      - .offset:         60
        .size:           4
        .value_kind:     by_value
      - .offset:         64
        .size:           4
        .value_kind:     by_value
      - .offset:         68
        .size:           4
        .value_kind:     by_value
      - .address_space:  global
        .offset:         72
        .size:           8
        .value_kind:     global_buffer
    .group_segment_fixed_size: 0
    .kernarg_segment_align: 8
    .kernarg_segment_size: 80
    .language:       OpenCL C
    .language_version:
      - 2
      - 0
    .max_flat_workgroup_size: 256
    .name:           _ZN9rocsparseL25check_matrix_gebsr_deviceILj256EfiiEEv20rocsparse_direction_T2_S2_T1_S2_S2_PKT0_PKS3_PKS2_SA_21rocsparse_index_base_22rocsparse_matrix_type_20rocsparse_fill_mode_23rocsparse_storage_mode_P22rocsparse_data_status_
    .private_segment_fixed_size: 0
    .sgpr_count:     78
    .sgpr_spill_count: 0
    .symbol:         _ZN9rocsparseL25check_matrix_gebsr_deviceILj256EfiiEEv20rocsparse_direction_T2_S2_T1_S2_S2_PKT0_PKS3_PKS2_SA_21rocsparse_index_base_22rocsparse_matrix_type_20rocsparse_fill_mode_23rocsparse_storage_mode_P22rocsparse_data_status_.kd
    .uniform_work_group_size: 1
    .uses_dynamic_stack: false
    .vgpr_count:     15
    .vgpr_spill_count: 0
    .wavefront_size: 64
  - .agpr_count:     0
    .args:
      - .offset:         0
        .size:           4
        .value_kind:     by_value
      - .offset:         4
        .size:           4
        .value_kind:     by_value
      - .offset:         8
        .size:           4
        .value_kind:     by_value
      - .offset:         12
        .size:           4
        .value_kind:     by_value
      - .offset:         16
        .size:           4
        .value_kind:     by_value
      - .offset:         20
        .size:           4
        .value_kind:     by_value
      - .actual_access:  read_only
        .address_space:  global
        .offset:         24
        .size:           8
        .value_kind:     global_buffer
      - .actual_access:  read_only
        .address_space:  global
        .offset:         32
        .size:           8
        .value_kind:     global_buffer
      - .address_space:  global
        .offset:         40
        .size:           8
        .value_kind:     global_buffer
      - .address_space:  global
        .offset:         48
        .size:           8
        .value_kind:     global_buffer
      - .offset:         56
        .size:           4
        .value_kind:     by_value
      - .offset:         60
        .size:           4
        .value_kind:     by_value
      - .offset:         64
        .size:           4
        .value_kind:     by_value
      - .offset:         68
        .size:           4
        .value_kind:     by_value
      - .address_space:  global
        .offset:         72
        .size:           8
        .value_kind:     global_buffer
    .group_segment_fixed_size: 0
    .kernarg_segment_align: 8
    .kernarg_segment_size: 80
    .language:       OpenCL C
    .language_version:
      - 2
      - 0
    .max_flat_workgroup_size: 256
    .name:           _ZN9rocsparseL25check_matrix_gebsr_deviceILj256EdiiEEv20rocsparse_direction_T2_S2_T1_S2_S2_PKT0_PKS3_PKS2_SA_21rocsparse_index_base_22rocsparse_matrix_type_20rocsparse_fill_mode_23rocsparse_storage_mode_P22rocsparse_data_status_
    .private_segment_fixed_size: 0
    .sgpr_count:     80
    .sgpr_spill_count: 0
    .symbol:         _ZN9rocsparseL25check_matrix_gebsr_deviceILj256EdiiEEv20rocsparse_direction_T2_S2_T1_S2_S2_PKT0_PKS3_PKS2_SA_21rocsparse_index_base_22rocsparse_matrix_type_20rocsparse_fill_mode_23rocsparse_storage_mode_P22rocsparse_data_status_.kd
    .uniform_work_group_size: 1
    .uses_dynamic_stack: false
    .vgpr_count:     16
    .vgpr_spill_count: 0
    .wavefront_size: 64
  - .agpr_count:     0
    .args:
      - .offset:         0
        .size:           4
        .value_kind:     by_value
      - .offset:         4
        .size:           4
        .value_kind:     by_value
      - .offset:         8
        .size:           4
        .value_kind:     by_value
      - .offset:         12
        .size:           4
        .value_kind:     by_value
      - .offset:         16
        .size:           4
        .value_kind:     by_value
      - .offset:         20
        .size:           4
        .value_kind:     by_value
      - .actual_access:  read_only
        .address_space:  global
        .offset:         24
        .size:           8
        .value_kind:     global_buffer
      - .actual_access:  read_only
        .address_space:  global
        .offset:         32
        .size:           8
        .value_kind:     global_buffer
      - .address_space:  global
        .offset:         40
        .size:           8
        .value_kind:     global_buffer
      - .address_space:  global
        .offset:         48
        .size:           8
        .value_kind:     global_buffer
      - .offset:         56
        .size:           4
        .value_kind:     by_value
      - .offset:         60
        .size:           4
        .value_kind:     by_value
      - .offset:         64
        .size:           4
        .value_kind:     by_value
      - .offset:         68
        .size:           4
        .value_kind:     by_value
      - .address_space:  global
        .offset:         72
        .size:           8
        .value_kind:     global_buffer
    .group_segment_fixed_size: 0
    .kernarg_segment_align: 8
    .kernarg_segment_size: 80
    .language:       OpenCL C
    .language_version:
      - 2
      - 0
    .max_flat_workgroup_size: 256
    .name:           _ZN9rocsparseL25check_matrix_gebsr_deviceILj256E21rocsparse_complex_numIfEiiEEv20rocsparse_direction_T2_S4_T1_S4_S4_PKT0_PKS5_PKS4_SC_21rocsparse_index_base_22rocsparse_matrix_type_20rocsparse_fill_mode_23rocsparse_storage_mode_P22rocsparse_data_status_
    .private_segment_fixed_size: 0
    .sgpr_count:     80
    .sgpr_spill_count: 0
    .symbol:         _ZN9rocsparseL25check_matrix_gebsr_deviceILj256E21rocsparse_complex_numIfEiiEEv20rocsparse_direction_T2_S4_T1_S4_S4_PKT0_PKS5_PKS4_SC_21rocsparse_index_base_22rocsparse_matrix_type_20rocsparse_fill_mode_23rocsparse_storage_mode_P22rocsparse_data_status_.kd
    .uniform_work_group_size: 1
    .uses_dynamic_stack: false
    .vgpr_count:     15
    .vgpr_spill_count: 0
    .wavefront_size: 64
  - .agpr_count:     0
    .args:
      - .offset:         0
        .size:           4
        .value_kind:     by_value
      - .offset:         4
        .size:           4
        .value_kind:     by_value
      - .offset:         8
        .size:           4
        .value_kind:     by_value
      - .offset:         12
        .size:           4
        .value_kind:     by_value
      - .offset:         16
        .size:           4
        .value_kind:     by_value
      - .offset:         20
        .size:           4
        .value_kind:     by_value
      - .actual_access:  read_only
        .address_space:  global
        .offset:         24
        .size:           8
        .value_kind:     global_buffer
      - .actual_access:  read_only
        .address_space:  global
        .offset:         32
        .size:           8
        .value_kind:     global_buffer
      - .address_space:  global
        .offset:         40
        .size:           8
        .value_kind:     global_buffer
      - .address_space:  global
        .offset:         48
        .size:           8
        .value_kind:     global_buffer
      - .offset:         56
        .size:           4
        .value_kind:     by_value
      - .offset:         60
        .size:           4
        .value_kind:     by_value
      - .offset:         64
        .size:           4
        .value_kind:     by_value
      - .offset:         68
        .size:           4
        .value_kind:     by_value
      - .address_space:  global
        .offset:         72
        .size:           8
        .value_kind:     global_buffer
    .group_segment_fixed_size: 0
    .kernarg_segment_align: 8
    .kernarg_segment_size: 80
    .language:       OpenCL C
    .language_version:
      - 2
      - 0
    .max_flat_workgroup_size: 256
    .name:           _ZN9rocsparseL25check_matrix_gebsr_deviceILj256E21rocsparse_complex_numIdEiiEEv20rocsparse_direction_T2_S4_T1_S4_S4_PKT0_PKS5_PKS4_SC_21rocsparse_index_base_22rocsparse_matrix_type_20rocsparse_fill_mode_23rocsparse_storage_mode_P22rocsparse_data_status_
    .private_segment_fixed_size: 0
    .sgpr_count:     82
    .sgpr_spill_count: 0
    .symbol:         _ZN9rocsparseL25check_matrix_gebsr_deviceILj256E21rocsparse_complex_numIdEiiEEv20rocsparse_direction_T2_S4_T1_S4_S4_PKT0_PKS5_PKS4_SC_21rocsparse_index_base_22rocsparse_matrix_type_20rocsparse_fill_mode_23rocsparse_storage_mode_P22rocsparse_data_status_.kd
    .uniform_work_group_size: 1
    .uses_dynamic_stack: false
    .vgpr_count:     16
    .vgpr_spill_count: 0
    .wavefront_size: 64
  - .agpr_count:     0
    .args:
      - .offset:         0
        .size:           4
        .value_kind:     by_value
      - .actual_access:  read_only
        .address_space:  global
        .offset:         8
        .size:           8
        .value_kind:     global_buffer
      - .address_space:  global
        .offset:         16
        .size:           8
        .value_kind:     global_buffer
    .group_segment_fixed_size: 0
    .kernarg_segment_align: 8
    .kernarg_segment_size: 24
    .language:       OpenCL C
    .language_version:
      - 2
      - 0
    .max_flat_workgroup_size: 256
    .name:           _ZN9rocsparseL19check_row_ptr_arrayILj256EliEEvT1_PKT0_P22rocsparse_data_status_
    .private_segment_fixed_size: 0
    .sgpr_count:     12
    .sgpr_spill_count: 0
    .symbol:         _ZN9rocsparseL19check_row_ptr_arrayILj256EliEEvT1_PKT0_P22rocsparse_data_status_.kd
    .uniform_work_group_size: 1
    .uses_dynamic_stack: false
    .vgpr_count:     4
    .vgpr_spill_count: 0
    .wavefront_size: 64
  - .agpr_count:     0
    .args:
      - .offset:         0
        .size:           4
        .value_kind:     by_value
      - .actual_access:  read_only
        .address_space:  global
        .offset:         8
        .size:           8
        .value_kind:     global_buffer
      - .actual_access:  write_only
        .address_space:  global
        .offset:         16
        .size:           8
        .value_kind:     global_buffer
    .group_segment_fixed_size: 0
    .kernarg_segment_align: 8
    .kernarg_segment_size: 24
    .language:       OpenCL C
    .language_version:
      - 2
      - 0
    .max_flat_workgroup_size: 512
    .name:           _ZN9rocsparseL20shift_offsets_kernelILj512EliEEvT1_PKT0_PS2_
    .private_segment_fixed_size: 0
    .sgpr_count:     14
    .sgpr_spill_count: 0
    .symbol:         _ZN9rocsparseL20shift_offsets_kernelILj512EliEEvT1_PKT0_PS2_.kd
    .uniform_work_group_size: 1
    .uses_dynamic_stack: false
    .vgpr_count:     5
    .vgpr_spill_count: 0
    .wavefront_size: 64
  - .agpr_count:     0
    .args:
      - .offset:         0
        .size:           4
        .value_kind:     by_value
      - .offset:         4
        .size:           4
        .value_kind:     by_value
      - .offset:         8
        .size:           4
        .value_kind:     by_value
      - .offset:         16
        .size:           8
        .value_kind:     by_value
      - .offset:         24
        .size:           4
        .value_kind:     by_value
      - .offset:         28
        .size:           4
        .value_kind:     by_value
      - .actual_access:  read_only
        .address_space:  global
        .offset:         32
        .size:           8
        .value_kind:     global_buffer
      - .actual_access:  read_only
        .address_space:  global
        .offset:         40
        .size:           8
        .value_kind:     global_buffer
      - .address_space:  global
        .offset:         48
        .size:           8
        .value_kind:     global_buffer
      - .address_space:  global
        .offset:         56
        .size:           8
        .value_kind:     global_buffer
      - .offset:         64
        .size:           4
        .value_kind:     by_value
      - .offset:         68
        .size:           4
        .value_kind:     by_value
      - .offset:         72
        .size:           4
        .value_kind:     by_value
      - .offset:         76
        .size:           4
        .value_kind:     by_value
      - .address_space:  global
        .offset:         80
        .size:           8
        .value_kind:     global_buffer
    .group_segment_fixed_size: 0
    .kernarg_segment_align: 8
    .kernarg_segment_size: 88
    .language:       OpenCL C
    .language_version:
      - 2
      - 0
    .max_flat_workgroup_size: 256
    .name:           _ZN9rocsparseL25check_matrix_gebsr_deviceILj256EfliEEv20rocsparse_direction_T2_S2_T1_S2_S2_PKT0_PKS3_PKS2_SA_21rocsparse_index_base_22rocsparse_matrix_type_20rocsparse_fill_mode_23rocsparse_storage_mode_P22rocsparse_data_status_
    .private_segment_fixed_size: 0
    .sgpr_count:     78
    .sgpr_spill_count: 0
    .symbol:         _ZN9rocsparseL25check_matrix_gebsr_deviceILj256EfliEEv20rocsparse_direction_T2_S2_T1_S2_S2_PKT0_PKS3_PKS2_SA_21rocsparse_index_base_22rocsparse_matrix_type_20rocsparse_fill_mode_23rocsparse_storage_mode_P22rocsparse_data_status_.kd
    .uniform_work_group_size: 1
    .uses_dynamic_stack: false
    .vgpr_count:     17
    .vgpr_spill_count: 0
    .wavefront_size: 64
  - .agpr_count:     0
    .args:
      - .offset:         0
        .size:           4
        .value_kind:     by_value
      - .offset:         4
        .size:           4
        .value_kind:     by_value
      - .offset:         8
        .size:           4
        .value_kind:     by_value
      - .offset:         16
        .size:           8
        .value_kind:     by_value
      - .offset:         24
        .size:           4
        .value_kind:     by_value
      - .offset:         28
        .size:           4
        .value_kind:     by_value
      - .actual_access:  read_only
        .address_space:  global
        .offset:         32
        .size:           8
        .value_kind:     global_buffer
      - .actual_access:  read_only
        .address_space:  global
        .offset:         40
        .size:           8
        .value_kind:     global_buffer
      - .address_space:  global
        .offset:         48
        .size:           8
        .value_kind:     global_buffer
      - .address_space:  global
        .offset:         56
        .size:           8
        .value_kind:     global_buffer
      - .offset:         64
        .size:           4
        .value_kind:     by_value
      - .offset:         68
        .size:           4
        .value_kind:     by_value
      - .offset:         72
        .size:           4
        .value_kind:     by_value
      - .offset:         76
        .size:           4
        .value_kind:     by_value
      - .address_space:  global
        .offset:         80
        .size:           8
        .value_kind:     global_buffer
    .group_segment_fixed_size: 0
    .kernarg_segment_align: 8
    .kernarg_segment_size: 88
    .language:       OpenCL C
    .language_version:
      - 2
      - 0
    .max_flat_workgroup_size: 256
    .name:           _ZN9rocsparseL25check_matrix_gebsr_deviceILj256EdliEEv20rocsparse_direction_T2_S2_T1_S2_S2_PKT0_PKS3_PKS2_SA_21rocsparse_index_base_22rocsparse_matrix_type_20rocsparse_fill_mode_23rocsparse_storage_mode_P22rocsparse_data_status_
    .private_segment_fixed_size: 0
    .sgpr_count:     80
    .sgpr_spill_count: 0
    .symbol:         _ZN9rocsparseL25check_matrix_gebsr_deviceILj256EdliEEv20rocsparse_direction_T2_S2_T1_S2_S2_PKT0_PKS3_PKS2_SA_21rocsparse_index_base_22rocsparse_matrix_type_20rocsparse_fill_mode_23rocsparse_storage_mode_P22rocsparse_data_status_.kd
    .uniform_work_group_size: 1
    .uses_dynamic_stack: false
    .vgpr_count:     18
    .vgpr_spill_count: 0
    .wavefront_size: 64
  - .agpr_count:     0
    .args:
      - .offset:         0
        .size:           4
        .value_kind:     by_value
      - .offset:         4
        .size:           4
        .value_kind:     by_value
      - .offset:         8
        .size:           4
        .value_kind:     by_value
      - .offset:         16
        .size:           8
        .value_kind:     by_value
      - .offset:         24
        .size:           4
        .value_kind:     by_value
      - .offset:         28
        .size:           4
        .value_kind:     by_value
      - .actual_access:  read_only
        .address_space:  global
        .offset:         32
        .size:           8
        .value_kind:     global_buffer
      - .actual_access:  read_only
        .address_space:  global
        .offset:         40
        .size:           8
        .value_kind:     global_buffer
      - .address_space:  global
        .offset:         48
        .size:           8
        .value_kind:     global_buffer
      - .address_space:  global
        .offset:         56
        .size:           8
        .value_kind:     global_buffer
      - .offset:         64
        .size:           4
        .value_kind:     by_value
      - .offset:         68
        .size:           4
        .value_kind:     by_value
      - .offset:         72
        .size:           4
        .value_kind:     by_value
      - .offset:         76
        .size:           4
        .value_kind:     by_value
      - .address_space:  global
        .offset:         80
        .size:           8
        .value_kind:     global_buffer
    .group_segment_fixed_size: 0
    .kernarg_segment_align: 8
    .kernarg_segment_size: 88
    .language:       OpenCL C
    .language_version:
      - 2
      - 0
    .max_flat_workgroup_size: 256
    .name:           _ZN9rocsparseL25check_matrix_gebsr_deviceILj256E21rocsparse_complex_numIfEliEEv20rocsparse_direction_T2_S4_T1_S4_S4_PKT0_PKS5_PKS4_SC_21rocsparse_index_base_22rocsparse_matrix_type_20rocsparse_fill_mode_23rocsparse_storage_mode_P22rocsparse_data_status_
    .private_segment_fixed_size: 0
    .sgpr_count:     80
    .sgpr_spill_count: 0
    .symbol:         _ZN9rocsparseL25check_matrix_gebsr_deviceILj256E21rocsparse_complex_numIfEliEEv20rocsparse_direction_T2_S4_T1_S4_S4_PKT0_PKS5_PKS4_SC_21rocsparse_index_base_22rocsparse_matrix_type_20rocsparse_fill_mode_23rocsparse_storage_mode_P22rocsparse_data_status_.kd
    .uniform_work_group_size: 1
    .uses_dynamic_stack: false
    .vgpr_count:     17
    .vgpr_spill_count: 0
    .wavefront_size: 64
  - .agpr_count:     0
    .args:
      - .offset:         0
        .size:           4
        .value_kind:     by_value
      - .offset:         4
        .size:           4
        .value_kind:     by_value
      - .offset:         8
        .size:           4
        .value_kind:     by_value
      - .offset:         16
        .size:           8
        .value_kind:     by_value
      - .offset:         24
        .size:           4
        .value_kind:     by_value
      - .offset:         28
        .size:           4
        .value_kind:     by_value
      - .actual_access:  read_only
        .address_space:  global
        .offset:         32
        .size:           8
        .value_kind:     global_buffer
      - .actual_access:  read_only
        .address_space:  global
        .offset:         40
        .size:           8
        .value_kind:     global_buffer
      - .address_space:  global
        .offset:         48
        .size:           8
        .value_kind:     global_buffer
      - .address_space:  global
        .offset:         56
        .size:           8
        .value_kind:     global_buffer
      - .offset:         64
        .size:           4
        .value_kind:     by_value
      - .offset:         68
        .size:           4
        .value_kind:     by_value
      - .offset:         72
        .size:           4
        .value_kind:     by_value
      - .offset:         76
        .size:           4
        .value_kind:     by_value
      - .address_space:  global
        .offset:         80
        .size:           8
        .value_kind:     global_buffer
    .group_segment_fixed_size: 0
    .kernarg_segment_align: 8
    .kernarg_segment_size: 88
    .language:       OpenCL C
    .language_version:
      - 2
      - 0
    .max_flat_workgroup_size: 256
    .name:           _ZN9rocsparseL25check_matrix_gebsr_deviceILj256E21rocsparse_complex_numIdEliEEv20rocsparse_direction_T2_S4_T1_S4_S4_PKT0_PKS5_PKS4_SC_21rocsparse_index_base_22rocsparse_matrix_type_20rocsparse_fill_mode_23rocsparse_storage_mode_P22rocsparse_data_status_
    .private_segment_fixed_size: 0
    .sgpr_count:     82
    .sgpr_spill_count: 0
    .symbol:         _ZN9rocsparseL25check_matrix_gebsr_deviceILj256E21rocsparse_complex_numIdEliEEv20rocsparse_direction_T2_S4_T1_S4_S4_PKT0_PKS5_PKS4_SC_21rocsparse_index_base_22rocsparse_matrix_type_20rocsparse_fill_mode_23rocsparse_storage_mode_P22rocsparse_data_status_.kd
    .uniform_work_group_size: 1
    .uses_dynamic_stack: false
    .vgpr_count:     18
    .vgpr_spill_count: 0
    .wavefront_size: 64
  - .agpr_count:     0
    .args:
      - .offset:         0
        .size:           8
        .value_kind:     by_value
      - .actual_access:  read_only
        .address_space:  global
        .offset:         8
        .size:           8
        .value_kind:     global_buffer
      - .address_space:  global
        .offset:         16
        .size:           8
        .value_kind:     global_buffer
    .group_segment_fixed_size: 0
    .kernarg_segment_align: 8
    .kernarg_segment_size: 24
    .language:       OpenCL C
    .language_version:
      - 2
      - 0
    .max_flat_workgroup_size: 256
    .name:           _ZN9rocsparseL19check_row_ptr_arrayILj256EllEEvT1_PKT0_P22rocsparse_data_status_
    .private_segment_fixed_size: 0
    .sgpr_count:     12
    .sgpr_spill_count: 0
    .symbol:         _ZN9rocsparseL19check_row_ptr_arrayILj256EllEEvT1_PKT0_P22rocsparse_data_status_.kd
    .uniform_work_group_size: 1
    .uses_dynamic_stack: false
    .vgpr_count:     4
    .vgpr_spill_count: 0
    .wavefront_size: 64
  - .agpr_count:     0
    .args:
      - .offset:         0
        .size:           8
        .value_kind:     by_value
      - .actual_access:  read_only
        .address_space:  global
        .offset:         8
        .size:           8
        .value_kind:     global_buffer
      - .actual_access:  write_only
        .address_space:  global
        .offset:         16
        .size:           8
        .value_kind:     global_buffer
    .group_segment_fixed_size: 0
    .kernarg_segment_align: 8
    .kernarg_segment_size: 24
    .language:       OpenCL C
    .language_version:
      - 2
      - 0
    .max_flat_workgroup_size: 512
    .name:           _ZN9rocsparseL20shift_offsets_kernelILj512EllEEvT1_PKT0_PS2_
    .private_segment_fixed_size: 0
    .sgpr_count:     14
    .sgpr_spill_count: 0
    .symbol:         _ZN9rocsparseL20shift_offsets_kernelILj512EllEEvT1_PKT0_PS2_.kd
    .uniform_work_group_size: 1
    .uses_dynamic_stack: false
    .vgpr_count:     5
    .vgpr_spill_count: 0
    .wavefront_size: 64
  - .agpr_count:     0
    .args:
      - .offset:         0
        .size:           4
        .value_kind:     by_value
      - .offset:         8
        .size:           8
        .value_kind:     by_value
      - .offset:         16
        .size:           8
        .value_kind:     by_value
      - .offset:         24
        .size:           8
        .value_kind:     by_value
      - .offset:         32
        .size:           8
        .value_kind:     by_value
      - .offset:         40
        .size:           8
        .value_kind:     by_value
      - .actual_access:  read_only
        .address_space:  global
        .offset:         48
        .size:           8
        .value_kind:     global_buffer
      - .actual_access:  read_only
        .address_space:  global
        .offset:         56
        .size:           8
        .value_kind:     global_buffer
      - .address_space:  global
        .offset:         64
        .size:           8
        .value_kind:     global_buffer
      - .address_space:  global
        .offset:         72
        .size:           8
        .value_kind:     global_buffer
      - .offset:         80
        .size:           4
        .value_kind:     by_value
      - .offset:         84
        .size:           4
        .value_kind:     by_value
      - .offset:         88
        .size:           4
        .value_kind:     by_value
      - .offset:         92
        .size:           4
        .value_kind:     by_value
      - .address_space:  global
        .offset:         96
        .size:           8
        .value_kind:     global_buffer
    .group_segment_fixed_size: 0
    .kernarg_segment_align: 8
    .kernarg_segment_size: 104
    .language:       OpenCL C
    .language_version:
      - 2
      - 0
    .max_flat_workgroup_size: 256
    .name:           _ZN9rocsparseL25check_matrix_gebsr_deviceILj256EfllEEv20rocsparse_direction_T2_S2_T1_S2_S2_PKT0_PKS3_PKS2_SA_21rocsparse_index_base_22rocsparse_matrix_type_20rocsparse_fill_mode_23rocsparse_storage_mode_P22rocsparse_data_status_
    .private_segment_fixed_size: 0
    .sgpr_count:     84
    .sgpr_spill_count: 0
    .symbol:         _ZN9rocsparseL25check_matrix_gebsr_deviceILj256EfllEEv20rocsparse_direction_T2_S2_T1_S2_S2_PKT0_PKS3_PKS2_SA_21rocsparse_index_base_22rocsparse_matrix_type_20rocsparse_fill_mode_23rocsparse_storage_mode_P22rocsparse_data_status_.kd
    .uniform_work_group_size: 1
    .uses_dynamic_stack: false
    .vgpr_count:     24
    .vgpr_spill_count: 0
    .wavefront_size: 64
  - .agpr_count:     0
    .args:
      - .offset:         0
        .size:           4
        .value_kind:     by_value
      - .offset:         8
        .size:           8
        .value_kind:     by_value
      - .offset:         16
        .size:           8
        .value_kind:     by_value
      - .offset:         24
        .size:           8
        .value_kind:     by_value
      - .offset:         32
        .size:           8
        .value_kind:     by_value
      - .offset:         40
        .size:           8
        .value_kind:     by_value
      - .actual_access:  read_only
        .address_space:  global
        .offset:         48
        .size:           8
        .value_kind:     global_buffer
      - .actual_access:  read_only
        .address_space:  global
        .offset:         56
        .size:           8
        .value_kind:     global_buffer
      - .address_space:  global
        .offset:         64
        .size:           8
        .value_kind:     global_buffer
      - .address_space:  global
        .offset:         72
        .size:           8
        .value_kind:     global_buffer
      - .offset:         80
        .size:           4
        .value_kind:     by_value
      - .offset:         84
        .size:           4
        .value_kind:     by_value
      - .offset:         88
        .size:           4
        .value_kind:     by_value
      - .offset:         92
        .size:           4
        .value_kind:     by_value
      - .address_space:  global
        .offset:         96
        .size:           8
        .value_kind:     global_buffer
    .group_segment_fixed_size: 0
    .kernarg_segment_align: 8
    .kernarg_segment_size: 104
    .language:       OpenCL C
    .language_version:
      - 2
      - 0
    .max_flat_workgroup_size: 256
    .name:           _ZN9rocsparseL25check_matrix_gebsr_deviceILj256EdllEEv20rocsparse_direction_T2_S2_T1_S2_S2_PKT0_PKS3_PKS2_SA_21rocsparse_index_base_22rocsparse_matrix_type_20rocsparse_fill_mode_23rocsparse_storage_mode_P22rocsparse_data_status_
    .private_segment_fixed_size: 0
    .sgpr_count:     86
    .sgpr_spill_count: 0
    .symbol:         _ZN9rocsparseL25check_matrix_gebsr_deviceILj256EdllEEv20rocsparse_direction_T2_S2_T1_S2_S2_PKT0_PKS3_PKS2_SA_21rocsparse_index_base_22rocsparse_matrix_type_20rocsparse_fill_mode_23rocsparse_storage_mode_P22rocsparse_data_status_.kd
    .uniform_work_group_size: 1
    .uses_dynamic_stack: false
    .vgpr_count:     23
    .vgpr_spill_count: 0
    .wavefront_size: 64
  - .agpr_count:     0
    .args:
      - .offset:         0
        .size:           4
        .value_kind:     by_value
      - .offset:         8
        .size:           8
        .value_kind:     by_value
      - .offset:         16
        .size:           8
        .value_kind:     by_value
      - .offset:         24
        .size:           8
        .value_kind:     by_value
      - .offset:         32
        .size:           8
        .value_kind:     by_value
      - .offset:         40
        .size:           8
        .value_kind:     by_value
      - .actual_access:  read_only
        .address_space:  global
        .offset:         48
        .size:           8
        .value_kind:     global_buffer
      - .actual_access:  read_only
        .address_space:  global
        .offset:         56
        .size:           8
        .value_kind:     global_buffer
      - .address_space:  global
        .offset:         64
        .size:           8
        .value_kind:     global_buffer
      - .address_space:  global
        .offset:         72
        .size:           8
        .value_kind:     global_buffer
      - .offset:         80
        .size:           4
        .value_kind:     by_value
      - .offset:         84
        .size:           4
        .value_kind:     by_value
      - .offset:         88
        .size:           4
        .value_kind:     by_value
      - .offset:         92
        .size:           4
        .value_kind:     by_value
      - .address_space:  global
        .offset:         96
        .size:           8
        .value_kind:     global_buffer
    .group_segment_fixed_size: 0
    .kernarg_segment_align: 8
    .kernarg_segment_size: 104
    .language:       OpenCL C
    .language_version:
      - 2
      - 0
    .max_flat_workgroup_size: 256
    .name:           _ZN9rocsparseL25check_matrix_gebsr_deviceILj256E21rocsparse_complex_numIfEllEEv20rocsparse_direction_T2_S4_T1_S4_S4_PKT0_PKS5_PKS4_SC_21rocsparse_index_base_22rocsparse_matrix_type_20rocsparse_fill_mode_23rocsparse_storage_mode_P22rocsparse_data_status_
    .private_segment_fixed_size: 0
    .sgpr_count:     84
    .sgpr_spill_count: 0
    .symbol:         _ZN9rocsparseL25check_matrix_gebsr_deviceILj256E21rocsparse_complex_numIfEllEEv20rocsparse_direction_T2_S4_T1_S4_S4_PKT0_PKS5_PKS4_SC_21rocsparse_index_base_22rocsparse_matrix_type_20rocsparse_fill_mode_23rocsparse_storage_mode_P22rocsparse_data_status_.kd
    .uniform_work_group_size: 1
    .uses_dynamic_stack: false
    .vgpr_count:     23
    .vgpr_spill_count: 0
    .wavefront_size: 64
  - .agpr_count:     0
    .args:
      - .offset:         0
        .size:           4
        .value_kind:     by_value
      - .offset:         8
        .size:           8
        .value_kind:     by_value
      - .offset:         16
        .size:           8
        .value_kind:     by_value
      - .offset:         24
        .size:           8
        .value_kind:     by_value
      - .offset:         32
        .size:           8
        .value_kind:     by_value
      - .offset:         40
        .size:           8
        .value_kind:     by_value
      - .actual_access:  read_only
        .address_space:  global
        .offset:         48
        .size:           8
        .value_kind:     global_buffer
      - .actual_access:  read_only
        .address_space:  global
        .offset:         56
        .size:           8
        .value_kind:     global_buffer
      - .address_space:  global
        .offset:         64
        .size:           8
        .value_kind:     global_buffer
      - .address_space:  global
        .offset:         72
        .size:           8
        .value_kind:     global_buffer
      - .offset:         80
        .size:           4
        .value_kind:     by_value
      - .offset:         84
        .size:           4
        .value_kind:     by_value
      - .offset:         88
        .size:           4
        .value_kind:     by_value
      - .offset:         92
        .size:           4
        .value_kind:     by_value
      - .address_space:  global
        .offset:         96
        .size:           8
        .value_kind:     global_buffer
    .group_segment_fixed_size: 0
    .kernarg_segment_align: 8
    .kernarg_segment_size: 104
    .language:       OpenCL C
    .language_version:
      - 2
      - 0
    .max_flat_workgroup_size: 256
    .name:           _ZN9rocsparseL25check_matrix_gebsr_deviceILj256E21rocsparse_complex_numIdEllEEv20rocsparse_direction_T2_S4_T1_S4_S4_PKT0_PKS5_PKS4_SC_21rocsparse_index_base_22rocsparse_matrix_type_20rocsparse_fill_mode_23rocsparse_storage_mode_P22rocsparse_data_status_
    .private_segment_fixed_size: 0
    .sgpr_count:     86
    .sgpr_spill_count: 0
    .symbol:         _ZN9rocsparseL25check_matrix_gebsr_deviceILj256E21rocsparse_complex_numIdEllEEv20rocsparse_direction_T2_S4_T1_S4_S4_PKT0_PKS5_PKS4_SC_21rocsparse_index_base_22rocsparse_matrix_type_20rocsparse_fill_mode_23rocsparse_storage_mode_P22rocsparse_data_status_.kd
    .uniform_work_group_size: 1
    .uses_dynamic_stack: false
    .vgpr_count:     25
    .vgpr_spill_count: 0
    .wavefront_size: 64
amdhsa.target:   amdgcn-amd-amdhsa--gfx950
amdhsa.version:
  - 1
  - 2
...

	.end_amdgpu_metadata
